;; amdgpu-corpus repo=ROCm/rocSPARSE kind=compiled arch=gfx1250 opt=O3
	.amdgcn_target "amdgcn-amd-amdhsa--gfx1250"
	.amdhsa_code_object_version 6
	.section	.text._ZN9rocsparseL26bsrpad_value_kernel_sortedILi1024EfEEviiiT0_21rocsparse_index_base_PS1_PKiS5_,"axG",@progbits,_ZN9rocsparseL26bsrpad_value_kernel_sortedILi1024EfEEviiiT0_21rocsparse_index_base_PS1_PKiS5_,comdat
	.globl	_ZN9rocsparseL26bsrpad_value_kernel_sortedILi1024EfEEviiiT0_21rocsparse_index_base_PS1_PKiS5_ ; -- Begin function _ZN9rocsparseL26bsrpad_value_kernel_sortedILi1024EfEEviiiT0_21rocsparse_index_base_PS1_PKiS5_
	.p2align	8
	.type	_ZN9rocsparseL26bsrpad_value_kernel_sortedILi1024EfEEviiiT0_21rocsparse_index_base_PS1_PKiS5_,@function
_ZN9rocsparseL26bsrpad_value_kernel_sortedILi1024EfEEviiiT0_21rocsparse_index_base_PS1_PKiS5_: ; @_ZN9rocsparseL26bsrpad_value_kernel_sortedILi1024EfEEviiiT0_21rocsparse_index_base_PS1_PKiS5_
; %bb.0:
	s_clause 0x2
	s_load_b128 s[4:7], s[0:1], 0x0
	s_load_b64 s[2:3], s[0:1], 0x20
	s_load_b32 s8, s[0:1], 0x10
	s_wait_kmcnt 0x0
	s_ashr_i32 s11, s5, 31
	s_mov_b32 s10, s5
	s_delay_alu instid0(SALU_CYCLE_1) | instskip(NEXT) | instid1(SALU_CYCLE_1)
	s_lshl_b64 s[10:11], s[10:11], 2
	s_add_nc_u64 s[2:3], s[2:3], s[10:11]
	s_delay_alu instid0(SALU_CYCLE_1) | instskip(SKIP_3) | instid1(SALU_CYCLE_1)
	s_add_nc_u64 s[10:11], s[2:3], -4
	s_load_b64 s[2:3], s[10:11], 0x0
	s_wait_kmcnt 0x0
	s_sub_co_i32 s2, s3, s2
	s_cmp_lt_i32 s2, 1
	s_mov_b32 s2, -1
	s_cbranch_scc1 .LBB0_2
; %bb.1:
	s_load_b64 s[10:11], s[0:1], 0x28
	s_not_b32 s2, s8
	s_add_co_i32 s5, s5, -1
	s_add_co_i32 s2, s3, s2
	s_delay_alu instid0(SALU_CYCLE_1) | instskip(NEXT) | instid1(SALU_CYCLE_1)
	s_ashr_i32 s3, s2, 31
	s_lshl_b64 s[12:13], s[2:3], 2
	s_wait_kmcnt 0x0
	s_add_nc_u64 s[10:11], s[10:11], s[12:13]
	s_load_b32 s3, s[10:11], 0x0
	s_wait_kmcnt 0x0
	s_sub_co_i32 s3, s3, s8
	s_delay_alu instid0(SALU_CYCLE_1)
	s_cmp_eq_u32 s3, s5
	s_cselect_b32 s2, s2, -1
.LBB0_2:
	s_bfe_u32 s3, ttmp6, 0x4000c
	s_and_b32 s5, ttmp6, 15
	s_add_co_i32 s3, s3, 1
	s_getreg_b32 s8, hwreg(HW_REG_IB_STS2, 6, 4)
	s_mul_i32 s3, ttmp9, s3
	s_delay_alu instid0(SALU_CYCLE_1)
	s_add_co_i32 s5, s5, s3
	s_cmp_eq_u32 s8, 0
	s_cselect_b32 s3, ttmp9, s5
	s_cmp_gt_i32 s2, -1
	v_lshl_or_b32 v0, s3, 10, v0
	s_cselect_b32 s3, -1, 0
	s_delay_alu instid0(VALU_DEP_1) | instskip(SKIP_1) | instid1(SALU_CYCLE_1)
	v_cmp_gt_i32_e32 vcc_lo, s6, v0
	s_and_b32 s3, s3, vcc_lo
	s_and_saveexec_b32 s5, s3
	s_cbranch_execz .LBB0_5
; %bb.3:
	s_abs_i32 s3, s6
	s_abs_i32 s9, s4
	s_cvt_f32_u32 s5, s3
	s_sub_co_i32 s8, 0, s3
	s_ashr_i32 s4, s4, 31
	s_delay_alu instid0(SALU_CYCLE_1) | instskip(SKIP_1) | instid1(TRANS32_DEP_1)
	v_rcp_iflag_f32_e32 v1, s5
	v_nop
	v_readfirstlane_b32 s5, v1
	s_mul_f32 s5, s5, 0x4f7ffffe
	s_delay_alu instid0(SALU_CYCLE_3) | instskip(NEXT) | instid1(SALU_CYCLE_3)
	s_cvt_u32_f32 s5, s5
	s_mul_i32 s8, s8, s5
	s_delay_alu instid0(SALU_CYCLE_1) | instskip(NEXT) | instid1(SALU_CYCLE_1)
	s_mul_hi_u32 s8, s5, s8
	s_add_co_i32 s5, s5, s8
	s_delay_alu instid0(SALU_CYCLE_1) | instskip(NEXT) | instid1(SALU_CYCLE_1)
	s_mul_hi_u32 s5, s9, s5
	s_mul_i32 s5, s5, s3
	s_delay_alu instid0(SALU_CYCLE_1) | instskip(NEXT) | instid1(SALU_CYCLE_1)
	s_sub_co_i32 s5, s9, s5
	s_sub_co_i32 s8, s5, s3
	s_cmp_ge_u32 s5, s3
	s_cselect_b32 s5, s8, s5
	s_delay_alu instid0(SALU_CYCLE_1) | instskip(SKIP_2) | instid1(SALU_CYCLE_1)
	s_sub_co_i32 s8, s5, s3
	s_cmp_ge_u32 s5, s3
	s_cselect_b32 s3, s8, s5
	s_xor_b32 s3, s3, s4
	s_delay_alu instid0(SALU_CYCLE_1) | instskip(NEXT) | instid1(SALU_CYCLE_1)
	s_sub_co_i32 s3, s3, s4
	v_cmp_le_i32_e32 vcc_lo, s3, v0
	s_cmp_gt_i32 s3, 0
	s_cselect_b32 s3, -1, 0
	s_delay_alu instid0(SALU_CYCLE_1) | instskip(NEXT) | instid1(SALU_CYCLE_1)
	s_and_b32 s3, s3, vcc_lo
	s_and_b32 exec_lo, exec_lo, s3
	s_cbranch_execz .LBB0_5
; %bb.4:
	v_mad_u32 v1, s2, s6, v0
	s_load_b64 s[0:1], s[0:1], 0x18
	s_delay_alu instid0(VALU_DEP_1)
	v_mad_u32 v0, v1, s6, v0
	v_mov_b32_e32 v1, s7
	s_wait_kmcnt 0x0
	global_store_b32 v0, v1, s[0:1] scale_offset
.LBB0_5:
	s_endpgm
	.section	.rodata,"a",@progbits
	.p2align	6, 0x0
	.amdhsa_kernel _ZN9rocsparseL26bsrpad_value_kernel_sortedILi1024EfEEviiiT0_21rocsparse_index_base_PS1_PKiS5_
		.amdhsa_group_segment_fixed_size 0
		.amdhsa_private_segment_fixed_size 0
		.amdhsa_kernarg_size 48
		.amdhsa_user_sgpr_count 2
		.amdhsa_user_sgpr_dispatch_ptr 0
		.amdhsa_user_sgpr_queue_ptr 0
		.amdhsa_user_sgpr_kernarg_segment_ptr 1
		.amdhsa_user_sgpr_dispatch_id 0
		.amdhsa_user_sgpr_kernarg_preload_length 0
		.amdhsa_user_sgpr_kernarg_preload_offset 0
		.amdhsa_user_sgpr_private_segment_size 0
		.amdhsa_wavefront_size32 1
		.amdhsa_uses_dynamic_stack 0
		.amdhsa_enable_private_segment 0
		.amdhsa_system_sgpr_workgroup_id_x 1
		.amdhsa_system_sgpr_workgroup_id_y 0
		.amdhsa_system_sgpr_workgroup_id_z 0
		.amdhsa_system_sgpr_workgroup_info 0
		.amdhsa_system_vgpr_workitem_id 0
		.amdhsa_next_free_vgpr 2
		.amdhsa_next_free_sgpr 14
		.amdhsa_named_barrier_count 0
		.amdhsa_reserve_vcc 1
		.amdhsa_float_round_mode_32 0
		.amdhsa_float_round_mode_16_64 0
		.amdhsa_float_denorm_mode_32 3
		.amdhsa_float_denorm_mode_16_64 3
		.amdhsa_fp16_overflow 0
		.amdhsa_memory_ordered 1
		.amdhsa_forward_progress 1
		.amdhsa_inst_pref_size 4
		.amdhsa_round_robin_scheduling 0
		.amdhsa_exception_fp_ieee_invalid_op 0
		.amdhsa_exception_fp_denorm_src 0
		.amdhsa_exception_fp_ieee_div_zero 0
		.amdhsa_exception_fp_ieee_overflow 0
		.amdhsa_exception_fp_ieee_underflow 0
		.amdhsa_exception_fp_ieee_inexact 0
		.amdhsa_exception_int_div_zero 0
	.end_amdhsa_kernel
	.section	.text._ZN9rocsparseL26bsrpad_value_kernel_sortedILi1024EfEEviiiT0_21rocsparse_index_base_PS1_PKiS5_,"axG",@progbits,_ZN9rocsparseL26bsrpad_value_kernel_sortedILi1024EfEEviiiT0_21rocsparse_index_base_PS1_PKiS5_,comdat
.Lfunc_end0:
	.size	_ZN9rocsparseL26bsrpad_value_kernel_sortedILi1024EfEEviiiT0_21rocsparse_index_base_PS1_PKiS5_, .Lfunc_end0-_ZN9rocsparseL26bsrpad_value_kernel_sortedILi1024EfEEviiiT0_21rocsparse_index_base_PS1_PKiS5_
                                        ; -- End function
	.set _ZN9rocsparseL26bsrpad_value_kernel_sortedILi1024EfEEviiiT0_21rocsparse_index_base_PS1_PKiS5_.num_vgpr, 2
	.set _ZN9rocsparseL26bsrpad_value_kernel_sortedILi1024EfEEviiiT0_21rocsparse_index_base_PS1_PKiS5_.num_agpr, 0
	.set _ZN9rocsparseL26bsrpad_value_kernel_sortedILi1024EfEEviiiT0_21rocsparse_index_base_PS1_PKiS5_.numbered_sgpr, 14
	.set _ZN9rocsparseL26bsrpad_value_kernel_sortedILi1024EfEEviiiT0_21rocsparse_index_base_PS1_PKiS5_.num_named_barrier, 0
	.set _ZN9rocsparseL26bsrpad_value_kernel_sortedILi1024EfEEviiiT0_21rocsparse_index_base_PS1_PKiS5_.private_seg_size, 0
	.set _ZN9rocsparseL26bsrpad_value_kernel_sortedILi1024EfEEviiiT0_21rocsparse_index_base_PS1_PKiS5_.uses_vcc, 1
	.set _ZN9rocsparseL26bsrpad_value_kernel_sortedILi1024EfEEviiiT0_21rocsparse_index_base_PS1_PKiS5_.uses_flat_scratch, 0
	.set _ZN9rocsparseL26bsrpad_value_kernel_sortedILi1024EfEEviiiT0_21rocsparse_index_base_PS1_PKiS5_.has_dyn_sized_stack, 0
	.set _ZN9rocsparseL26bsrpad_value_kernel_sortedILi1024EfEEviiiT0_21rocsparse_index_base_PS1_PKiS5_.has_recursion, 0
	.set _ZN9rocsparseL26bsrpad_value_kernel_sortedILi1024EfEEviiiT0_21rocsparse_index_base_PS1_PKiS5_.has_indirect_call, 0
	.section	.AMDGPU.csdata,"",@progbits
; Kernel info:
; codeLenInByte = 440
; TotalNumSgprs: 16
; NumVgprs: 2
; ScratchSize: 0
; MemoryBound: 0
; FloatMode: 240
; IeeeMode: 1
; LDSByteSize: 0 bytes/workgroup (compile time only)
; SGPRBlocks: 0
; VGPRBlocks: 0
; NumSGPRsForWavesPerEU: 16
; NumVGPRsForWavesPerEU: 2
; NamedBarCnt: 0
; Occupancy: 16
; WaveLimiterHint : 1
; COMPUTE_PGM_RSRC2:SCRATCH_EN: 0
; COMPUTE_PGM_RSRC2:USER_SGPR: 2
; COMPUTE_PGM_RSRC2:TRAP_HANDLER: 0
; COMPUTE_PGM_RSRC2:TGID_X_EN: 1
; COMPUTE_PGM_RSRC2:TGID_Y_EN: 0
; COMPUTE_PGM_RSRC2:TGID_Z_EN: 0
; COMPUTE_PGM_RSRC2:TIDIG_COMP_CNT: 0
	.section	.text._ZN9rocsparseL28bsrpad_value_kernel_unsortedILi1024EfEEviiiT0_21rocsparse_index_base_PS1_PKiS5_,"axG",@progbits,_ZN9rocsparseL28bsrpad_value_kernel_unsortedILi1024EfEEviiiT0_21rocsparse_index_base_PS1_PKiS5_,comdat
	.globl	_ZN9rocsparseL28bsrpad_value_kernel_unsortedILi1024EfEEviiiT0_21rocsparse_index_base_PS1_PKiS5_ ; -- Begin function _ZN9rocsparseL28bsrpad_value_kernel_unsortedILi1024EfEEviiiT0_21rocsparse_index_base_PS1_PKiS5_
	.p2align	8
	.type	_ZN9rocsparseL28bsrpad_value_kernel_unsortedILi1024EfEEviiiT0_21rocsparse_index_base_PS1_PKiS5_,@function
_ZN9rocsparseL28bsrpad_value_kernel_unsortedILi1024EfEEviiiT0_21rocsparse_index_base_PS1_PKiS5_: ; @_ZN9rocsparseL28bsrpad_value_kernel_unsortedILi1024EfEEviiiT0_21rocsparse_index_base_PS1_PKiS5_
; %bb.0:
	s_load_b64 s[2:3], s[0:1], 0x20
	s_mov_b32 s4, exec_lo
	v_cmpx_eq_u32_e32 0, v0
; %bb.1:
	v_dual_mov_b32 v1, -1 :: v_dual_mov_b32 v2, 0
	ds_store_b32 v2, v1
; %bb.2:
	s_or_b32 exec_lo, exec_lo, s4
	s_clause 0x1
	s_load_b128 s[4:7], s[0:1], 0x0
	s_load_b32 s10, s[0:1], 0x10
	s_mov_b32 s11, exec_lo
	s_wait_kmcnt 0x0
	s_ashr_i32 s9, s5, 31
	s_mov_b32 s8, s5
	v_subrev_nc_u32_e32 v1, s10, v0
	s_lshl_b64 s[8:9], s[8:9], 2
	s_delay_alu instid0(SALU_CYCLE_1) | instskip(NEXT) | instid1(SALU_CYCLE_1)
	s_add_nc_u64 s[2:3], s[2:3], s[8:9]
	s_add_nc_u64 s[8:9], s[2:3], -4
	s_load_b64 s[2:3], s[8:9], 0x0
	s_wait_dscnt 0x0
	s_barrier_signal -1
	s_barrier_wait -1
	s_wait_kmcnt 0x0
	v_add_nc_u32_e32 v2, s2, v1
	s_sub_co_i32 s3, s3, s10
	s_delay_alu instid0(VALU_DEP_1) | instid1(SALU_CYCLE_1)
	v_cmpx_gt_i32_e64 s3, v2
	s_cbranch_execz .LBB1_14
; %bb.3:
	v_add_nc_u32_e32 v1, s2, v0
	s_load_b64 s[8:9], s[0:1], 0x28
	v_not_b32_e32 v3, v0
	s_add_co_i32 s5, s5, -1
	s_mov_b32 s12, exec_lo
	v_subrev_nc_u32_e32 v1, s10, v1
	s_delay_alu instid0(VALU_DEP_1) | instskip(NEXT) | instid1(VALU_DEP_1)
	v_add_max_i32_e64 v1, 0x400, v1, s3
	v_add3_u32 v1, s10, v1, v3
	s_delay_alu instid0(VALU_DEP_1) | instskip(SKIP_1) | instid1(VALU_DEP_1)
	v_subrev_nc_u32_e32 v1, s2, v1
	s_mov_b32 s2, -1
	v_cmpx_lt_u32_e32 0x3ff, v1
	s_cbranch_execz .LBB1_9
; %bb.4:
	v_dual_lshrrev_b32 v1, 10, v1 :: v_dual_mov_b32 v7, 0
	v_add_nc_u32_e32 v3, 0x400, v2
	s_mov_b32 s13, s10
	s_mov_b32 s15, s5
	s_delay_alu instid0(VALU_DEP_2) | instskip(NEXT) | instid1(VALU_DEP_2)
	v_dual_mov_b32 v8, v2 :: v_dual_add_nc_u32 v1, 1, v1
	v_mov_b64_e32 v[4:5], v[2:3]
	s_mov_b32 s14, 0
	s_delay_alu instid0(VALU_DEP_2) | instskip(NEXT) | instid1(VALU_DEP_1)
	v_and_b32_e32 v6, 0x7ffffe, v1
	v_mov_b32_e32 v9, v6
	s_branch .LBB1_6
.LBB1_5:                                ;   in Loop: Header=BB1_6 Depth=1
	s_or_b32 exec_lo, exec_lo, s2
	v_add_nc_u32_e32 v9, -2, v9
	v_add_nc_u32_e32 v5, 0x800, v5
	v_add_nc_u32_e32 v4, 0x800, v4
	;; [unrolled: 1-line block ×3, first 2 shown]
	s_delay_alu instid0(VALU_DEP_4) | instskip(SKIP_1) | instid1(SALU_CYCLE_1)
	v_cmp_eq_u32_e32 vcc_lo, 0, v9
	s_or_b32 s14, vcc_lo, s14
	s_and_not1_b32 exec_lo, exec_lo, s14
	s_cbranch_execz .LBB1_8
.LBB1_6:                                ; =>This Inner Loop Header: Depth=1
	s_wait_kmcnt 0x0
	s_clause 0x1
	global_load_b32 v3, v5, s[8:9] scale_offset
	global_load_b32 v10, v4, s[8:9] scale_offset
	s_wait_loadcnt 0x1
	v_subrev_nc_u32_e32 v3, s13, v3
	s_wait_loadcnt 0x0
	v_subrev_nc_u32_e32 v10, s10, v10
	s_delay_alu instid0(VALU_DEP_2) | instskip(NEXT) | instid1(VALU_DEP_2)
	v_cmp_eq_u32_e32 vcc_lo, s15, v3
	v_cmp_eq_u32_e64 s2, s5, v10
	s_or_b32 s16, s2, vcc_lo
	s_wait_xcnt 0x0
	s_and_saveexec_b32 s2, s16
	s_cbranch_execz .LBB1_5
; %bb.7:                                ;   in Loop: Header=BB1_6 Depth=1
	v_add_nc_u32_e32 v3, 0x400, v8
	s_delay_alu instid0(VALU_DEP_1)
	v_cndmask_b32_e32 v3, v8, v3, vcc_lo
	ds_store_b32 v7, v3
	s_branch .LBB1_5
.LBB1_8:
	s_or_b32 exec_lo, exec_lo, s14
	v_cmp_ne_u32_e32 vcc_lo, v1, v6
	v_lshl_add_u32 v2, v6, 10, v2
	s_or_not1_b32 s2, vcc_lo, exec_lo
.LBB1_9:
	s_or_b32 exec_lo, exec_lo, s12
	s_delay_alu instid0(SALU_CYCLE_1)
	s_and_b32 exec_lo, exec_lo, s2
	s_cbranch_execz .LBB1_14
; %bb.10:
	v_dual_ashrrev_i32 v3, 31, v2 :: v_dual_mov_b32 v1, 0
	s_mov_b32 s2, 0
	s_wait_kmcnt 0x0
	s_delay_alu instid0(VALU_DEP_1)
	v_lshl_add_u64 v[4:5], v[2:3], 2, s[8:9]
	s_branch .LBB1_12
.LBB1_11:                               ;   in Loop: Header=BB1_12 Depth=1
	s_or_b32 exec_lo, exec_lo, s8
	v_add_nc_u32_e32 v2, 0x400, v2
	v_add_nc_u64_e32 v[4:5], 0x1000, v[4:5]
	s_delay_alu instid0(VALU_DEP_2) | instskip(SKIP_1) | instid1(SALU_CYCLE_1)
	v_cmp_le_i32_e32 vcc_lo, s3, v2
	s_or_b32 s2, vcc_lo, s2
	s_and_not1_b32 exec_lo, exec_lo, s2
	s_cbranch_execz .LBB1_14
.LBB1_12:                               ; =>This Inner Loop Header: Depth=1
	global_load_b32 v3, v[4:5], off
	s_mov_b32 s8, exec_lo
	s_wait_loadcnt 0x0
	v_subrev_nc_u32_e32 v3, s10, v3
	s_delay_alu instid0(VALU_DEP_1)
	v_cmpx_eq_u32_e64 s5, v3
	s_cbranch_execz .LBB1_11
; %bb.13:                               ;   in Loop: Header=BB1_12 Depth=1
	ds_store_b32 v1, v2
	s_branch .LBB1_11
.LBB1_14:
	s_or_b32 exec_lo, exec_lo, s11
	v_mov_b32_e32 v1, 0
	s_wait_dscnt 0x0
	s_barrier_signal -1
	s_barrier_wait -1
	ds_load_b32 v1, v1
	s_bfe_u32 s2, ttmp6, 0x4000c
	s_and_b32 s3, ttmp6, 15
	s_add_co_i32 s2, s2, 1
	s_getreg_b32 s5, hwreg(HW_REG_IB_STS2, 6, 4)
	s_mul_i32 s2, ttmp9, s2
	s_delay_alu instid0(SALU_CYCLE_1) | instskip(SKIP_2) | instid1(SALU_CYCLE_1)
	s_add_co_i32 s3, s3, s2
	s_cmp_eq_u32 s5, 0
	s_cselect_b32 s2, ttmp9, s3
	v_lshl_or_b32 v0, s2, 10, v0
	s_delay_alu instid0(VALU_DEP_1) | instskip(SKIP_4) | instid1(SALU_CYCLE_1)
	v_cmp_gt_i32_e32 vcc_lo, s6, v0
	s_wait_dscnt 0x0
	v_readfirstlane_b32 s2, v1
	s_cmp_gt_i32 s2, -1
	s_cselect_b32 s2, -1, 0
	s_and_b32 s2, s2, vcc_lo
	s_delay_alu instid0(SALU_CYCLE_1)
	s_and_saveexec_b32 s3, s2
	s_cbranch_execz .LBB1_17
; %bb.15:
	s_abs_i32 s2, s6
	s_wait_kmcnt 0x0
	s_abs_i32 s8, s4
	s_cvt_f32_u32 s3, s2
	s_sub_co_i32 s5, 0, s2
	s_ashr_i32 s4, s4, 31
	s_delay_alu instid0(SALU_CYCLE_1) | instskip(SKIP_1) | instid1(TRANS32_DEP_1)
	v_rcp_iflag_f32_e32 v2, s3
	v_nop
	v_readfirstlane_b32 s3, v2
	s_mul_f32 s3, s3, 0x4f7ffffe
	s_delay_alu instid0(SALU_CYCLE_3) | instskip(NEXT) | instid1(SALU_CYCLE_3)
	s_cvt_u32_f32 s3, s3
	s_mul_i32 s5, s5, s3
	s_delay_alu instid0(SALU_CYCLE_1) | instskip(NEXT) | instid1(SALU_CYCLE_1)
	s_mul_hi_u32 s5, s3, s5
	s_add_co_i32 s3, s3, s5
	s_delay_alu instid0(SALU_CYCLE_1) | instskip(NEXT) | instid1(SALU_CYCLE_1)
	s_mul_hi_u32 s3, s8, s3
	s_mul_i32 s3, s3, s2
	s_delay_alu instid0(SALU_CYCLE_1) | instskip(NEXT) | instid1(SALU_CYCLE_1)
	s_sub_co_i32 s3, s8, s3
	s_sub_co_i32 s5, s3, s2
	s_cmp_ge_u32 s3, s2
	s_cselect_b32 s3, s5, s3
	s_delay_alu instid0(SALU_CYCLE_1) | instskip(SKIP_2) | instid1(SALU_CYCLE_1)
	s_sub_co_i32 s5, s3, s2
	s_cmp_ge_u32 s3, s2
	s_cselect_b32 s2, s5, s3
	s_xor_b32 s2, s2, s4
	s_delay_alu instid0(SALU_CYCLE_1) | instskip(NEXT) | instid1(SALU_CYCLE_1)
	s_sub_co_i32 s2, s2, s4
	v_cmp_le_i32_e32 vcc_lo, s2, v0
	s_cmp_gt_i32 s2, 0
	s_cselect_b32 s2, -1, 0
	s_delay_alu instid0(SALU_CYCLE_1) | instskip(NEXT) | instid1(SALU_CYCLE_1)
	s_and_b32 s2, s2, vcc_lo
	s_and_b32 exec_lo, exec_lo, s2
	s_cbranch_execz .LBB1_17
; %bb.16:
	v_mad_u32 v1, v1, s6, v0
	s_load_b64 s[0:1], s[0:1], 0x18
	s_delay_alu instid0(VALU_DEP_1)
	v_mad_u32 v0, v1, s6, v0
	v_mov_b32_e32 v1, s7
	s_wait_kmcnt 0x0
	global_store_b32 v0, v1, s[0:1] scale_offset
.LBB1_17:
	s_endpgm
	.section	.rodata,"a",@progbits
	.p2align	6, 0x0
	.amdhsa_kernel _ZN9rocsparseL28bsrpad_value_kernel_unsortedILi1024EfEEviiiT0_21rocsparse_index_base_PS1_PKiS5_
		.amdhsa_group_segment_fixed_size 4
		.amdhsa_private_segment_fixed_size 0
		.amdhsa_kernarg_size 48
		.amdhsa_user_sgpr_count 2
		.amdhsa_user_sgpr_dispatch_ptr 0
		.amdhsa_user_sgpr_queue_ptr 0
		.amdhsa_user_sgpr_kernarg_segment_ptr 1
		.amdhsa_user_sgpr_dispatch_id 0
		.amdhsa_user_sgpr_kernarg_preload_length 0
		.amdhsa_user_sgpr_kernarg_preload_offset 0
		.amdhsa_user_sgpr_private_segment_size 0
		.amdhsa_wavefront_size32 1
		.amdhsa_uses_dynamic_stack 0
		.amdhsa_enable_private_segment 0
		.amdhsa_system_sgpr_workgroup_id_x 1
		.amdhsa_system_sgpr_workgroup_id_y 0
		.amdhsa_system_sgpr_workgroup_id_z 0
		.amdhsa_system_sgpr_workgroup_info 0
		.amdhsa_system_vgpr_workitem_id 0
		.amdhsa_next_free_vgpr 11
		.amdhsa_next_free_sgpr 17
		.amdhsa_named_barrier_count 0
		.amdhsa_reserve_vcc 1
		.amdhsa_float_round_mode_32 0
		.amdhsa_float_round_mode_16_64 0
		.amdhsa_float_denorm_mode_32 3
		.amdhsa_float_denorm_mode_16_64 3
		.amdhsa_fp16_overflow 0
		.amdhsa_memory_ordered 1
		.amdhsa_forward_progress 1
		.amdhsa_inst_pref_size 8
		.amdhsa_round_robin_scheduling 0
		.amdhsa_exception_fp_ieee_invalid_op 0
		.amdhsa_exception_fp_denorm_src 0
		.amdhsa_exception_fp_ieee_div_zero 0
		.amdhsa_exception_fp_ieee_overflow 0
		.amdhsa_exception_fp_ieee_underflow 0
		.amdhsa_exception_fp_ieee_inexact 0
		.amdhsa_exception_int_div_zero 0
	.end_amdhsa_kernel
	.section	.text._ZN9rocsparseL28bsrpad_value_kernel_unsortedILi1024EfEEviiiT0_21rocsparse_index_base_PS1_PKiS5_,"axG",@progbits,_ZN9rocsparseL28bsrpad_value_kernel_unsortedILi1024EfEEviiiT0_21rocsparse_index_base_PS1_PKiS5_,comdat
.Lfunc_end1:
	.size	_ZN9rocsparseL28bsrpad_value_kernel_unsortedILi1024EfEEviiiT0_21rocsparse_index_base_PS1_PKiS5_, .Lfunc_end1-_ZN9rocsparseL28bsrpad_value_kernel_unsortedILi1024EfEEviiiT0_21rocsparse_index_base_PS1_PKiS5_
                                        ; -- End function
	.set _ZN9rocsparseL28bsrpad_value_kernel_unsortedILi1024EfEEviiiT0_21rocsparse_index_base_PS1_PKiS5_.num_vgpr, 11
	.set _ZN9rocsparseL28bsrpad_value_kernel_unsortedILi1024EfEEviiiT0_21rocsparse_index_base_PS1_PKiS5_.num_agpr, 0
	.set _ZN9rocsparseL28bsrpad_value_kernel_unsortedILi1024EfEEviiiT0_21rocsparse_index_base_PS1_PKiS5_.numbered_sgpr, 17
	.set _ZN9rocsparseL28bsrpad_value_kernel_unsortedILi1024EfEEviiiT0_21rocsparse_index_base_PS1_PKiS5_.num_named_barrier, 0
	.set _ZN9rocsparseL28bsrpad_value_kernel_unsortedILi1024EfEEviiiT0_21rocsparse_index_base_PS1_PKiS5_.private_seg_size, 0
	.set _ZN9rocsparseL28bsrpad_value_kernel_unsortedILi1024EfEEviiiT0_21rocsparse_index_base_PS1_PKiS5_.uses_vcc, 1
	.set _ZN9rocsparseL28bsrpad_value_kernel_unsortedILi1024EfEEviiiT0_21rocsparse_index_base_PS1_PKiS5_.uses_flat_scratch, 0
	.set _ZN9rocsparseL28bsrpad_value_kernel_unsortedILi1024EfEEviiiT0_21rocsparse_index_base_PS1_PKiS5_.has_dyn_sized_stack, 0
	.set _ZN9rocsparseL28bsrpad_value_kernel_unsortedILi1024EfEEviiiT0_21rocsparse_index_base_PS1_PKiS5_.has_recursion, 0
	.set _ZN9rocsparseL28bsrpad_value_kernel_unsortedILi1024EfEEviiiT0_21rocsparse_index_base_PS1_PKiS5_.has_indirect_call, 0
	.section	.AMDGPU.csdata,"",@progbits
; Kernel info:
; codeLenInByte = 936
; TotalNumSgprs: 19
; NumVgprs: 11
; ScratchSize: 0
; MemoryBound: 0
; FloatMode: 240
; IeeeMode: 1
; LDSByteSize: 4 bytes/workgroup (compile time only)
; SGPRBlocks: 0
; VGPRBlocks: 0
; NumSGPRsForWavesPerEU: 19
; NumVGPRsForWavesPerEU: 11
; NamedBarCnt: 0
; Occupancy: 16
; WaveLimiterHint : 0
; COMPUTE_PGM_RSRC2:SCRATCH_EN: 0
; COMPUTE_PGM_RSRC2:USER_SGPR: 2
; COMPUTE_PGM_RSRC2:TRAP_HANDLER: 0
; COMPUTE_PGM_RSRC2:TGID_X_EN: 1
; COMPUTE_PGM_RSRC2:TGID_Y_EN: 0
; COMPUTE_PGM_RSRC2:TGID_Z_EN: 0
; COMPUTE_PGM_RSRC2:TIDIG_COMP_CNT: 0
	.section	.text._ZN9rocsparseL26bsrpad_value_kernel_sortedILi1024EdEEviiiT0_21rocsparse_index_base_PS1_PKiS5_,"axG",@progbits,_ZN9rocsparseL26bsrpad_value_kernel_sortedILi1024EdEEviiiT0_21rocsparse_index_base_PS1_PKiS5_,comdat
	.globl	_ZN9rocsparseL26bsrpad_value_kernel_sortedILi1024EdEEviiiT0_21rocsparse_index_base_PS1_PKiS5_ ; -- Begin function _ZN9rocsparseL26bsrpad_value_kernel_sortedILi1024EdEEviiiT0_21rocsparse_index_base_PS1_PKiS5_
	.p2align	8
	.type	_ZN9rocsparseL26bsrpad_value_kernel_sortedILi1024EdEEviiiT0_21rocsparse_index_base_PS1_PKiS5_,@function
_ZN9rocsparseL26bsrpad_value_kernel_sortedILi1024EdEEviiiT0_21rocsparse_index_base_PS1_PKiS5_: ; @_ZN9rocsparseL26bsrpad_value_kernel_sortedILi1024EdEEviiiT0_21rocsparse_index_base_PS1_PKiS5_
; %bb.0:
	s_clause 0x1
	s_load_b96 s[4:6], s[0:1], 0x0
	s_load_b64 s[2:3], s[0:1], 0x28
	s_wait_kmcnt 0x0
	s_ashr_i32 s9, s5, 31
	s_mov_b32 s8, s5
	s_delay_alu instid0(SALU_CYCLE_1) | instskip(NEXT) | instid1(SALU_CYCLE_1)
	s_lshl_b64 s[8:9], s[8:9], 2
	s_add_nc_u64 s[2:3], s[2:3], s[8:9]
	s_delay_alu instid0(SALU_CYCLE_1) | instskip(SKIP_3) | instid1(SALU_CYCLE_1)
	s_add_nc_u64 s[8:9], s[2:3], -4
	s_load_b64 s[2:3], s[8:9], 0x0
	s_wait_kmcnt 0x0
	s_sub_co_i32 s2, s3, s2
	s_cmp_lt_i32 s2, 1
	s_mov_b32 s2, -1
	s_cbranch_scc1 .LBB2_2
; %bb.1:
	s_clause 0x1
	s_load_b32 s7, s[0:1], 0x18
	s_load_b64 s[8:9], s[0:1], 0x30
	s_add_co_i32 s5, s5, -1
	s_wait_kmcnt 0x0
	s_not_b32 s2, s7
	s_delay_alu instid0(SALU_CYCLE_1) | instskip(NEXT) | instid1(SALU_CYCLE_1)
	s_add_co_i32 s2, s3, s2
	s_ashr_i32 s3, s2, 31
	s_delay_alu instid0(SALU_CYCLE_1) | instskip(NEXT) | instid1(SALU_CYCLE_1)
	s_lshl_b64 s[10:11], s[2:3], 2
	s_add_nc_u64 s[8:9], s[8:9], s[10:11]
	s_load_b32 s3, s[8:9], 0x0
	s_wait_kmcnt 0x0
	s_sub_co_i32 s3, s3, s7
	s_delay_alu instid0(SALU_CYCLE_1)
	s_cmp_eq_u32 s3, s5
	s_cselect_b32 s2, s2, -1
.LBB2_2:
	s_bfe_u32 s3, ttmp6, 0x4000c
	s_and_b32 s5, ttmp6, 15
	s_add_co_i32 s3, s3, 1
	s_getreg_b32 s7, hwreg(HW_REG_IB_STS2, 6, 4)
	s_mul_i32 s3, ttmp9, s3
	s_delay_alu instid0(SALU_CYCLE_1)
	s_add_co_i32 s5, s5, s3
	s_cmp_eq_u32 s7, 0
	s_cselect_b32 s3, ttmp9, s5
	s_cmp_gt_i32 s2, -1
	v_lshl_or_b32 v0, s3, 10, v0
	s_cselect_b32 s3, -1, 0
	s_delay_alu instid0(VALU_DEP_1) | instskip(SKIP_1) | instid1(SALU_CYCLE_1)
	v_cmp_gt_i32_e32 vcc_lo, s6, v0
	s_and_b32 s3, s3, vcc_lo
	s_and_saveexec_b32 s5, s3
	s_cbranch_execz .LBB2_5
; %bb.3:
	s_abs_i32 s3, s6
	s_abs_i32 s8, s4
	s_cvt_f32_u32 s5, s3
	s_sub_co_i32 s7, 0, s3
	s_ashr_i32 s4, s4, 31
	s_delay_alu instid0(SALU_CYCLE_1) | instskip(SKIP_1) | instid1(TRANS32_DEP_1)
	v_rcp_iflag_f32_e32 v1, s5
	v_nop
	v_readfirstlane_b32 s5, v1
	s_mul_f32 s5, s5, 0x4f7ffffe
	s_delay_alu instid0(SALU_CYCLE_3) | instskip(NEXT) | instid1(SALU_CYCLE_3)
	s_cvt_u32_f32 s5, s5
	s_mul_i32 s7, s7, s5
	s_delay_alu instid0(SALU_CYCLE_1) | instskip(NEXT) | instid1(SALU_CYCLE_1)
	s_mul_hi_u32 s7, s5, s7
	s_add_co_i32 s5, s5, s7
	s_delay_alu instid0(SALU_CYCLE_1) | instskip(NEXT) | instid1(SALU_CYCLE_1)
	s_mul_hi_u32 s5, s8, s5
	s_mul_i32 s5, s5, s3
	s_delay_alu instid0(SALU_CYCLE_1) | instskip(NEXT) | instid1(SALU_CYCLE_1)
	s_sub_co_i32 s5, s8, s5
	s_sub_co_i32 s7, s5, s3
	s_cmp_ge_u32 s5, s3
	s_cselect_b32 s5, s7, s5
	s_delay_alu instid0(SALU_CYCLE_1) | instskip(SKIP_2) | instid1(SALU_CYCLE_1)
	s_sub_co_i32 s7, s5, s3
	s_cmp_ge_u32 s5, s3
	s_cselect_b32 s3, s7, s5
	s_xor_b32 s3, s3, s4
	s_delay_alu instid0(SALU_CYCLE_1) | instskip(NEXT) | instid1(SALU_CYCLE_1)
	s_sub_co_i32 s3, s3, s4
	v_cmp_le_i32_e32 vcc_lo, s3, v0
	s_cmp_gt_i32 s3, 0
	s_cselect_b32 s3, -1, 0
	s_delay_alu instid0(SALU_CYCLE_1) | instskip(NEXT) | instid1(SALU_CYCLE_1)
	s_and_b32 s3, s3, vcc_lo
	s_and_b32 exec_lo, exec_lo, s3
	s_cbranch_execz .LBB2_5
; %bb.4:
	s_load_b64 s[4:5], s[0:1], 0x10
	v_mad_u32 v1, s2, s6, v0
	s_wait_xcnt 0x0
	s_load_b64 s[0:1], s[0:1], 0x20
	s_delay_alu instid0(VALU_DEP_1)
	v_mad_u32 v2, v1, s6, v0
	s_wait_kmcnt 0x0
	v_mov_b64_e32 v[0:1], s[4:5]
	global_store_b64 v2, v[0:1], s[0:1] scale_offset
.LBB2_5:
	s_endpgm
	.section	.rodata,"a",@progbits
	.p2align	6, 0x0
	.amdhsa_kernel _ZN9rocsparseL26bsrpad_value_kernel_sortedILi1024EdEEviiiT0_21rocsparse_index_base_PS1_PKiS5_
		.amdhsa_group_segment_fixed_size 0
		.amdhsa_private_segment_fixed_size 0
		.amdhsa_kernarg_size 56
		.amdhsa_user_sgpr_count 2
		.amdhsa_user_sgpr_dispatch_ptr 0
		.amdhsa_user_sgpr_queue_ptr 0
		.amdhsa_user_sgpr_kernarg_segment_ptr 1
		.amdhsa_user_sgpr_dispatch_id 0
		.amdhsa_user_sgpr_kernarg_preload_length 0
		.amdhsa_user_sgpr_kernarg_preload_offset 0
		.amdhsa_user_sgpr_private_segment_size 0
		.amdhsa_wavefront_size32 1
		.amdhsa_uses_dynamic_stack 0
		.amdhsa_enable_private_segment 0
		.amdhsa_system_sgpr_workgroup_id_x 1
		.amdhsa_system_sgpr_workgroup_id_y 0
		.amdhsa_system_sgpr_workgroup_id_z 0
		.amdhsa_system_sgpr_workgroup_info 0
		.amdhsa_system_vgpr_workitem_id 0
		.amdhsa_next_free_vgpr 3
		.amdhsa_next_free_sgpr 12
		.amdhsa_named_barrier_count 0
		.amdhsa_reserve_vcc 1
		.amdhsa_float_round_mode_32 0
		.amdhsa_float_round_mode_16_64 0
		.amdhsa_float_denorm_mode_32 3
		.amdhsa_float_denorm_mode_16_64 3
		.amdhsa_fp16_overflow 0
		.amdhsa_memory_ordered 1
		.amdhsa_forward_progress 1
		.amdhsa_inst_pref_size 4
		.amdhsa_round_robin_scheduling 0
		.amdhsa_exception_fp_ieee_invalid_op 0
		.amdhsa_exception_fp_denorm_src 0
		.amdhsa_exception_fp_ieee_div_zero 0
		.amdhsa_exception_fp_ieee_overflow 0
		.amdhsa_exception_fp_ieee_underflow 0
		.amdhsa_exception_fp_ieee_inexact 0
		.amdhsa_exception_int_div_zero 0
	.end_amdhsa_kernel
	.section	.text._ZN9rocsparseL26bsrpad_value_kernel_sortedILi1024EdEEviiiT0_21rocsparse_index_base_PS1_PKiS5_,"axG",@progbits,_ZN9rocsparseL26bsrpad_value_kernel_sortedILi1024EdEEviiiT0_21rocsparse_index_base_PS1_PKiS5_,comdat
.Lfunc_end2:
	.size	_ZN9rocsparseL26bsrpad_value_kernel_sortedILi1024EdEEviiiT0_21rocsparse_index_base_PS1_PKiS5_, .Lfunc_end2-_ZN9rocsparseL26bsrpad_value_kernel_sortedILi1024EdEEviiiT0_21rocsparse_index_base_PS1_PKiS5_
                                        ; -- End function
	.set _ZN9rocsparseL26bsrpad_value_kernel_sortedILi1024EdEEviiiT0_21rocsparse_index_base_PS1_PKiS5_.num_vgpr, 3
	.set _ZN9rocsparseL26bsrpad_value_kernel_sortedILi1024EdEEviiiT0_21rocsparse_index_base_PS1_PKiS5_.num_agpr, 0
	.set _ZN9rocsparseL26bsrpad_value_kernel_sortedILi1024EdEEviiiT0_21rocsparse_index_base_PS1_PKiS5_.numbered_sgpr, 12
	.set _ZN9rocsparseL26bsrpad_value_kernel_sortedILi1024EdEEviiiT0_21rocsparse_index_base_PS1_PKiS5_.num_named_barrier, 0
	.set _ZN9rocsparseL26bsrpad_value_kernel_sortedILi1024EdEEviiiT0_21rocsparse_index_base_PS1_PKiS5_.private_seg_size, 0
	.set _ZN9rocsparseL26bsrpad_value_kernel_sortedILi1024EdEEviiiT0_21rocsparse_index_base_PS1_PKiS5_.uses_vcc, 1
	.set _ZN9rocsparseL26bsrpad_value_kernel_sortedILi1024EdEEviiiT0_21rocsparse_index_base_PS1_PKiS5_.uses_flat_scratch, 0
	.set _ZN9rocsparseL26bsrpad_value_kernel_sortedILi1024EdEEviiiT0_21rocsparse_index_base_PS1_PKiS5_.has_dyn_sized_stack, 0
	.set _ZN9rocsparseL26bsrpad_value_kernel_sortedILi1024EdEEviiiT0_21rocsparse_index_base_PS1_PKiS5_.has_recursion, 0
	.set _ZN9rocsparseL26bsrpad_value_kernel_sortedILi1024EdEEviiiT0_21rocsparse_index_base_PS1_PKiS5_.has_indirect_call, 0
	.section	.AMDGPU.csdata,"",@progbits
; Kernel info:
; codeLenInByte = 460
; TotalNumSgprs: 14
; NumVgprs: 3
; ScratchSize: 0
; MemoryBound: 0
; FloatMode: 240
; IeeeMode: 1
; LDSByteSize: 0 bytes/workgroup (compile time only)
; SGPRBlocks: 0
; VGPRBlocks: 0
; NumSGPRsForWavesPerEU: 14
; NumVGPRsForWavesPerEU: 3
; NamedBarCnt: 0
; Occupancy: 16
; WaveLimiterHint : 1
; COMPUTE_PGM_RSRC2:SCRATCH_EN: 0
; COMPUTE_PGM_RSRC2:USER_SGPR: 2
; COMPUTE_PGM_RSRC2:TRAP_HANDLER: 0
; COMPUTE_PGM_RSRC2:TGID_X_EN: 1
; COMPUTE_PGM_RSRC2:TGID_Y_EN: 0
; COMPUTE_PGM_RSRC2:TGID_Z_EN: 0
; COMPUTE_PGM_RSRC2:TIDIG_COMP_CNT: 0
	.section	.text._ZN9rocsparseL28bsrpad_value_kernel_unsortedILi1024EdEEviiiT0_21rocsparse_index_base_PS1_PKiS5_,"axG",@progbits,_ZN9rocsparseL28bsrpad_value_kernel_unsortedILi1024EdEEviiiT0_21rocsparse_index_base_PS1_PKiS5_,comdat
	.globl	_ZN9rocsparseL28bsrpad_value_kernel_unsortedILi1024EdEEviiiT0_21rocsparse_index_base_PS1_PKiS5_ ; -- Begin function _ZN9rocsparseL28bsrpad_value_kernel_unsortedILi1024EdEEviiiT0_21rocsparse_index_base_PS1_PKiS5_
	.p2align	8
	.type	_ZN9rocsparseL28bsrpad_value_kernel_unsortedILi1024EdEEviiiT0_21rocsparse_index_base_PS1_PKiS5_,@function
_ZN9rocsparseL28bsrpad_value_kernel_unsortedILi1024EdEEviiiT0_21rocsparse_index_base_PS1_PKiS5_: ; @_ZN9rocsparseL28bsrpad_value_kernel_unsortedILi1024EdEEviiiT0_21rocsparse_index_base_PS1_PKiS5_
; %bb.0:
	s_load_b64 s[2:3], s[0:1], 0x28
	s_mov_b32 s4, exec_lo
	v_cmpx_eq_u32_e32 0, v0
; %bb.1:
	v_dual_mov_b32 v1, -1 :: v_dual_mov_b32 v2, 0
	ds_store_b32 v2, v1
; %bb.2:
	s_or_b32 exec_lo, exec_lo, s4
	s_clause 0x1
	s_load_b96 s[4:6], s[0:1], 0x0
	s_load_b32 s7, s[0:1], 0x18
	s_mov_b32 s10, exec_lo
	s_wait_kmcnt 0x0
	s_ashr_i32 s9, s5, 31
	s_mov_b32 s8, s5
	v_subrev_nc_u32_e32 v1, s7, v0
	s_lshl_b64 s[8:9], s[8:9], 2
	s_delay_alu instid0(SALU_CYCLE_1) | instskip(NEXT) | instid1(SALU_CYCLE_1)
	s_add_nc_u64 s[2:3], s[2:3], s[8:9]
	s_add_nc_u64 s[8:9], s[2:3], -4
	s_load_b64 s[2:3], s[8:9], 0x0
	s_wait_dscnt 0x0
	s_barrier_signal -1
	s_barrier_wait -1
	s_wait_kmcnt 0x0
	v_add_nc_u32_e32 v2, s2, v1
	s_sub_co_i32 s3, s3, s7
	s_delay_alu instid0(VALU_DEP_1) | instid1(SALU_CYCLE_1)
	v_cmpx_gt_i32_e64 s3, v2
	s_cbranch_execz .LBB3_14
; %bb.3:
	v_add_nc_u32_e32 v1, s2, v0
	s_load_b64 s[8:9], s[0:1], 0x30
	v_not_b32_e32 v3, v0
	s_add_co_i32 s5, s5, -1
	s_mov_b32 s11, exec_lo
	v_subrev_nc_u32_e32 v1, s7, v1
	s_delay_alu instid0(VALU_DEP_1) | instskip(NEXT) | instid1(VALU_DEP_1)
	v_add_max_i32_e64 v1, 0x400, v1, s3
	v_add3_u32 v1, s7, v1, v3
	s_delay_alu instid0(VALU_DEP_1) | instskip(SKIP_1) | instid1(VALU_DEP_1)
	v_subrev_nc_u32_e32 v1, s2, v1
	s_mov_b32 s2, -1
	v_cmpx_lt_u32_e32 0x3ff, v1
	s_cbranch_execz .LBB3_9
; %bb.4:
	v_dual_lshrrev_b32 v1, 10, v1 :: v_dual_mov_b32 v7, 0
	v_add_nc_u32_e32 v3, 0x400, v2
	s_mov_b32 s12, s7
	s_mov_b32 s14, s5
	s_delay_alu instid0(VALU_DEP_2) | instskip(NEXT) | instid1(VALU_DEP_2)
	v_dual_mov_b32 v8, v2 :: v_dual_add_nc_u32 v1, 1, v1
	v_mov_b64_e32 v[4:5], v[2:3]
	s_mov_b32 s13, 0
	s_delay_alu instid0(VALU_DEP_2) | instskip(NEXT) | instid1(VALU_DEP_1)
	v_and_b32_e32 v6, 0x7ffffe, v1
	v_mov_b32_e32 v9, v6
	s_branch .LBB3_6
.LBB3_5:                                ;   in Loop: Header=BB3_6 Depth=1
	s_or_b32 exec_lo, exec_lo, s2
	v_add_nc_u32_e32 v9, -2, v9
	v_add_nc_u32_e32 v5, 0x800, v5
	v_add_nc_u32_e32 v4, 0x800, v4
	;; [unrolled: 1-line block ×3, first 2 shown]
	s_delay_alu instid0(VALU_DEP_4) | instskip(SKIP_1) | instid1(SALU_CYCLE_1)
	v_cmp_eq_u32_e32 vcc_lo, 0, v9
	s_or_b32 s13, vcc_lo, s13
	s_and_not1_b32 exec_lo, exec_lo, s13
	s_cbranch_execz .LBB3_8
.LBB3_6:                                ; =>This Inner Loop Header: Depth=1
	s_wait_kmcnt 0x0
	s_clause 0x1
	global_load_b32 v3, v5, s[8:9] scale_offset
	global_load_b32 v10, v4, s[8:9] scale_offset
	s_wait_loadcnt 0x1
	v_subrev_nc_u32_e32 v3, s12, v3
	s_wait_loadcnt 0x0
	v_subrev_nc_u32_e32 v10, s7, v10
	s_delay_alu instid0(VALU_DEP_2) | instskip(NEXT) | instid1(VALU_DEP_2)
	v_cmp_eq_u32_e32 vcc_lo, s14, v3
	v_cmp_eq_u32_e64 s2, s5, v10
	s_or_b32 s15, s2, vcc_lo
	s_wait_xcnt 0x0
	s_and_saveexec_b32 s2, s15
	s_cbranch_execz .LBB3_5
; %bb.7:                                ;   in Loop: Header=BB3_6 Depth=1
	v_add_nc_u32_e32 v3, 0x400, v8
	s_delay_alu instid0(VALU_DEP_1)
	v_cndmask_b32_e32 v3, v8, v3, vcc_lo
	ds_store_b32 v7, v3
	s_branch .LBB3_5
.LBB3_8:
	s_or_b32 exec_lo, exec_lo, s13
	v_cmp_ne_u32_e32 vcc_lo, v1, v6
	v_lshl_add_u32 v2, v6, 10, v2
	s_or_not1_b32 s2, vcc_lo, exec_lo
.LBB3_9:
	s_or_b32 exec_lo, exec_lo, s11
	s_delay_alu instid0(SALU_CYCLE_1)
	s_and_b32 exec_lo, exec_lo, s2
	s_cbranch_execz .LBB3_14
; %bb.10:
	v_dual_ashrrev_i32 v3, 31, v2 :: v_dual_mov_b32 v1, 0
	s_mov_b32 s2, 0
	s_wait_kmcnt 0x0
	s_delay_alu instid0(VALU_DEP_1)
	v_lshl_add_u64 v[4:5], v[2:3], 2, s[8:9]
	s_branch .LBB3_12
.LBB3_11:                               ;   in Loop: Header=BB3_12 Depth=1
	s_or_b32 exec_lo, exec_lo, s8
	v_add_nc_u32_e32 v2, 0x400, v2
	v_add_nc_u64_e32 v[4:5], 0x1000, v[4:5]
	s_delay_alu instid0(VALU_DEP_2) | instskip(SKIP_1) | instid1(SALU_CYCLE_1)
	v_cmp_le_i32_e32 vcc_lo, s3, v2
	s_or_b32 s2, vcc_lo, s2
	s_and_not1_b32 exec_lo, exec_lo, s2
	s_cbranch_execz .LBB3_14
.LBB3_12:                               ; =>This Inner Loop Header: Depth=1
	global_load_b32 v3, v[4:5], off
	s_mov_b32 s8, exec_lo
	s_wait_loadcnt 0x0
	v_subrev_nc_u32_e32 v3, s7, v3
	s_delay_alu instid0(VALU_DEP_1)
	v_cmpx_eq_u32_e64 s5, v3
	s_cbranch_execz .LBB3_11
; %bb.13:                               ;   in Loop: Header=BB3_12 Depth=1
	ds_store_b32 v1, v2
	s_branch .LBB3_11
.LBB3_14:
	s_or_b32 exec_lo, exec_lo, s10
	v_mov_b32_e32 v1, 0
	s_wait_dscnt 0x0
	s_barrier_signal -1
	s_barrier_wait -1
	ds_load_b32 v1, v1
	s_bfe_u32 s2, ttmp6, 0x4000c
	s_and_b32 s3, ttmp6, 15
	s_add_co_i32 s2, s2, 1
	s_getreg_b32 s5, hwreg(HW_REG_IB_STS2, 6, 4)
	s_mul_i32 s2, ttmp9, s2
	s_delay_alu instid0(SALU_CYCLE_1) | instskip(SKIP_2) | instid1(SALU_CYCLE_1)
	s_add_co_i32 s3, s3, s2
	s_cmp_eq_u32 s5, 0
	s_cselect_b32 s2, ttmp9, s3
	v_lshl_or_b32 v0, s2, 10, v0
	s_delay_alu instid0(VALU_DEP_1) | instskip(SKIP_4) | instid1(SALU_CYCLE_1)
	v_cmp_gt_i32_e32 vcc_lo, s6, v0
	s_wait_dscnt 0x0
	v_readfirstlane_b32 s2, v1
	s_cmp_gt_i32 s2, -1
	s_cselect_b32 s2, -1, 0
	s_and_b32 s2, s2, vcc_lo
	s_delay_alu instid0(SALU_CYCLE_1)
	s_and_saveexec_b32 s3, s2
	s_cbranch_execz .LBB3_17
; %bb.15:
	s_abs_i32 s2, s6
	s_abs_i32 s7, s4
	s_cvt_f32_u32 s3, s2
	s_sub_co_i32 s5, 0, s2
	s_ashr_i32 s4, s4, 31
	s_delay_alu instid0(SALU_CYCLE_1) | instskip(SKIP_1) | instid1(TRANS32_DEP_1)
	v_rcp_iflag_f32_e32 v2, s3
	v_nop
	v_readfirstlane_b32 s3, v2
	s_mul_f32 s3, s3, 0x4f7ffffe
	s_delay_alu instid0(SALU_CYCLE_3) | instskip(NEXT) | instid1(SALU_CYCLE_3)
	s_cvt_u32_f32 s3, s3
	s_mul_i32 s5, s5, s3
	s_delay_alu instid0(SALU_CYCLE_1) | instskip(NEXT) | instid1(SALU_CYCLE_1)
	s_mul_hi_u32 s5, s3, s5
	s_add_co_i32 s3, s3, s5
	s_delay_alu instid0(SALU_CYCLE_1) | instskip(NEXT) | instid1(SALU_CYCLE_1)
	s_mul_hi_u32 s3, s7, s3
	s_mul_i32 s3, s3, s2
	s_delay_alu instid0(SALU_CYCLE_1) | instskip(NEXT) | instid1(SALU_CYCLE_1)
	s_sub_co_i32 s3, s7, s3
	s_sub_co_i32 s5, s3, s2
	s_cmp_ge_u32 s3, s2
	s_cselect_b32 s3, s5, s3
	s_delay_alu instid0(SALU_CYCLE_1) | instskip(SKIP_2) | instid1(SALU_CYCLE_1)
	s_sub_co_i32 s5, s3, s2
	s_cmp_ge_u32 s3, s2
	s_cselect_b32 s2, s5, s3
	s_xor_b32 s2, s2, s4
	s_delay_alu instid0(SALU_CYCLE_1) | instskip(NEXT) | instid1(SALU_CYCLE_1)
	s_sub_co_i32 s2, s2, s4
	v_cmp_le_i32_e32 vcc_lo, s2, v0
	s_cmp_gt_i32 s2, 0
	s_cselect_b32 s2, -1, 0
	s_delay_alu instid0(SALU_CYCLE_1) | instskip(NEXT) | instid1(SALU_CYCLE_1)
	s_and_b32 s2, s2, vcc_lo
	s_and_b32 exec_lo, exec_lo, s2
	s_cbranch_execz .LBB3_17
; %bb.16:
	s_load_b64 s[2:3], s[0:1], 0x10
	v_mad_u32 v1, v1, s6, v0
	s_wait_xcnt 0x0
	s_load_b64 s[0:1], s[0:1], 0x20
	s_delay_alu instid0(VALU_DEP_1)
	v_mad_u32 v2, v1, s6, v0
	s_wait_kmcnt 0x0
	v_mov_b64_e32 v[0:1], s[2:3]
	global_store_b64 v2, v[0:1], s[0:1] scale_offset
.LBB3_17:
	s_endpgm
	.section	.rodata,"a",@progbits
	.p2align	6, 0x0
	.amdhsa_kernel _ZN9rocsparseL28bsrpad_value_kernel_unsortedILi1024EdEEviiiT0_21rocsparse_index_base_PS1_PKiS5_
		.amdhsa_group_segment_fixed_size 4
		.amdhsa_private_segment_fixed_size 0
		.amdhsa_kernarg_size 56
		.amdhsa_user_sgpr_count 2
		.amdhsa_user_sgpr_dispatch_ptr 0
		.amdhsa_user_sgpr_queue_ptr 0
		.amdhsa_user_sgpr_kernarg_segment_ptr 1
		.amdhsa_user_sgpr_dispatch_id 0
		.amdhsa_user_sgpr_kernarg_preload_length 0
		.amdhsa_user_sgpr_kernarg_preload_offset 0
		.amdhsa_user_sgpr_private_segment_size 0
		.amdhsa_wavefront_size32 1
		.amdhsa_uses_dynamic_stack 0
		.amdhsa_enable_private_segment 0
		.amdhsa_system_sgpr_workgroup_id_x 1
		.amdhsa_system_sgpr_workgroup_id_y 0
		.amdhsa_system_sgpr_workgroup_id_z 0
		.amdhsa_system_sgpr_workgroup_info 0
		.amdhsa_system_vgpr_workitem_id 0
		.amdhsa_next_free_vgpr 11
		.amdhsa_next_free_sgpr 16
		.amdhsa_named_barrier_count 0
		.amdhsa_reserve_vcc 1
		.amdhsa_float_round_mode_32 0
		.amdhsa_float_round_mode_16_64 0
		.amdhsa_float_denorm_mode_32 3
		.amdhsa_float_denorm_mode_16_64 3
		.amdhsa_fp16_overflow 0
		.amdhsa_memory_ordered 1
		.amdhsa_forward_progress 1
		.amdhsa_inst_pref_size 8
		.amdhsa_round_robin_scheduling 0
		.amdhsa_exception_fp_ieee_invalid_op 0
		.amdhsa_exception_fp_denorm_src 0
		.amdhsa_exception_fp_ieee_div_zero 0
		.amdhsa_exception_fp_ieee_overflow 0
		.amdhsa_exception_fp_ieee_underflow 0
		.amdhsa_exception_fp_ieee_inexact 0
		.amdhsa_exception_int_div_zero 0
	.end_amdhsa_kernel
	.section	.text._ZN9rocsparseL28bsrpad_value_kernel_unsortedILi1024EdEEviiiT0_21rocsparse_index_base_PS1_PKiS5_,"axG",@progbits,_ZN9rocsparseL28bsrpad_value_kernel_unsortedILi1024EdEEviiiT0_21rocsparse_index_base_PS1_PKiS5_,comdat
.Lfunc_end3:
	.size	_ZN9rocsparseL28bsrpad_value_kernel_unsortedILi1024EdEEviiiT0_21rocsparse_index_base_PS1_PKiS5_, .Lfunc_end3-_ZN9rocsparseL28bsrpad_value_kernel_unsortedILi1024EdEEviiiT0_21rocsparse_index_base_PS1_PKiS5_
                                        ; -- End function
	.set _ZN9rocsparseL28bsrpad_value_kernel_unsortedILi1024EdEEviiiT0_21rocsparse_index_base_PS1_PKiS5_.num_vgpr, 11
	.set _ZN9rocsparseL28bsrpad_value_kernel_unsortedILi1024EdEEviiiT0_21rocsparse_index_base_PS1_PKiS5_.num_agpr, 0
	.set _ZN9rocsparseL28bsrpad_value_kernel_unsortedILi1024EdEEviiiT0_21rocsparse_index_base_PS1_PKiS5_.numbered_sgpr, 16
	.set _ZN9rocsparseL28bsrpad_value_kernel_unsortedILi1024EdEEviiiT0_21rocsparse_index_base_PS1_PKiS5_.num_named_barrier, 0
	.set _ZN9rocsparseL28bsrpad_value_kernel_unsortedILi1024EdEEviiiT0_21rocsparse_index_base_PS1_PKiS5_.private_seg_size, 0
	.set _ZN9rocsparseL28bsrpad_value_kernel_unsortedILi1024EdEEviiiT0_21rocsparse_index_base_PS1_PKiS5_.uses_vcc, 1
	.set _ZN9rocsparseL28bsrpad_value_kernel_unsortedILi1024EdEEviiiT0_21rocsparse_index_base_PS1_PKiS5_.uses_flat_scratch, 0
	.set _ZN9rocsparseL28bsrpad_value_kernel_unsortedILi1024EdEEviiiT0_21rocsparse_index_base_PS1_PKiS5_.has_dyn_sized_stack, 0
	.set _ZN9rocsparseL28bsrpad_value_kernel_unsortedILi1024EdEEviiiT0_21rocsparse_index_base_PS1_PKiS5_.has_recursion, 0
	.set _ZN9rocsparseL28bsrpad_value_kernel_unsortedILi1024EdEEviiiT0_21rocsparse_index_base_PS1_PKiS5_.has_indirect_call, 0
	.section	.AMDGPU.csdata,"",@progbits
; Kernel info:
; codeLenInByte = 944
; TotalNumSgprs: 18
; NumVgprs: 11
; ScratchSize: 0
; MemoryBound: 0
; FloatMode: 240
; IeeeMode: 1
; LDSByteSize: 4 bytes/workgroup (compile time only)
; SGPRBlocks: 0
; VGPRBlocks: 0
; NumSGPRsForWavesPerEU: 18
; NumVGPRsForWavesPerEU: 11
; NamedBarCnt: 0
; Occupancy: 16
; WaveLimiterHint : 0
; COMPUTE_PGM_RSRC2:SCRATCH_EN: 0
; COMPUTE_PGM_RSRC2:USER_SGPR: 2
; COMPUTE_PGM_RSRC2:TRAP_HANDLER: 0
; COMPUTE_PGM_RSRC2:TGID_X_EN: 1
; COMPUTE_PGM_RSRC2:TGID_Y_EN: 0
; COMPUTE_PGM_RSRC2:TGID_Z_EN: 0
; COMPUTE_PGM_RSRC2:TIDIG_COMP_CNT: 0
	.section	.text._ZN9rocsparseL26bsrpad_value_kernel_sortedILi1024E21rocsparse_complex_numIfEEEviiiT0_21rocsparse_index_base_PS3_PKiS7_,"axG",@progbits,_ZN9rocsparseL26bsrpad_value_kernel_sortedILi1024E21rocsparse_complex_numIfEEEviiiT0_21rocsparse_index_base_PS3_PKiS7_,comdat
	.globl	_ZN9rocsparseL26bsrpad_value_kernel_sortedILi1024E21rocsparse_complex_numIfEEEviiiT0_21rocsparse_index_base_PS3_PKiS7_ ; -- Begin function _ZN9rocsparseL26bsrpad_value_kernel_sortedILi1024E21rocsparse_complex_numIfEEEviiiT0_21rocsparse_index_base_PS3_PKiS7_
	.p2align	8
	.type	_ZN9rocsparseL26bsrpad_value_kernel_sortedILi1024E21rocsparse_complex_numIfEEEviiiT0_21rocsparse_index_base_PS3_PKiS7_,@function
_ZN9rocsparseL26bsrpad_value_kernel_sortedILi1024E21rocsparse_complex_numIfEEEviiiT0_21rocsparse_index_base_PS3_PKiS7_: ; @_ZN9rocsparseL26bsrpad_value_kernel_sortedILi1024E21rocsparse_complex_numIfEEEviiiT0_21rocsparse_index_base_PS3_PKiS7_
; %bb.0:
	s_clause 0x1
	s_load_b96 s[4:6], s[0:1], 0x0
	s_load_b64 s[2:3], s[0:1], 0x20
	s_wait_kmcnt 0x0
	s_ashr_i32 s9, s5, 31
	s_mov_b32 s8, s5
	s_delay_alu instid0(SALU_CYCLE_1) | instskip(NEXT) | instid1(SALU_CYCLE_1)
	s_lshl_b64 s[8:9], s[8:9], 2
	s_add_nc_u64 s[2:3], s[2:3], s[8:9]
	s_delay_alu instid0(SALU_CYCLE_1) | instskip(SKIP_3) | instid1(SALU_CYCLE_1)
	s_add_nc_u64 s[8:9], s[2:3], -4
	s_load_b64 s[2:3], s[8:9], 0x0
	s_wait_kmcnt 0x0
	s_sub_co_i32 s2, s3, s2
	s_cmp_lt_i32 s2, 1
	s_mov_b32 s2, -1
	s_cbranch_scc1 .LBB4_2
; %bb.1:
	s_clause 0x1
	s_load_b32 s7, s[0:1], 0x14
	s_load_b64 s[8:9], s[0:1], 0x28
	s_add_co_i32 s5, s5, -1
	s_wait_kmcnt 0x0
	s_not_b32 s2, s7
	s_delay_alu instid0(SALU_CYCLE_1) | instskip(NEXT) | instid1(SALU_CYCLE_1)
	s_add_co_i32 s2, s3, s2
	s_ashr_i32 s3, s2, 31
	s_delay_alu instid0(SALU_CYCLE_1) | instskip(NEXT) | instid1(SALU_CYCLE_1)
	s_lshl_b64 s[10:11], s[2:3], 2
	s_add_nc_u64 s[8:9], s[8:9], s[10:11]
	s_load_b32 s3, s[8:9], 0x0
	s_wait_kmcnt 0x0
	s_sub_co_i32 s3, s3, s7
	s_delay_alu instid0(SALU_CYCLE_1)
	s_cmp_eq_u32 s3, s5
	s_cselect_b32 s2, s2, -1
.LBB4_2:
	s_bfe_u32 s3, ttmp6, 0x4000c
	s_and_b32 s5, ttmp6, 15
	s_add_co_i32 s3, s3, 1
	s_getreg_b32 s7, hwreg(HW_REG_IB_STS2, 6, 4)
	s_mul_i32 s3, ttmp9, s3
	s_delay_alu instid0(SALU_CYCLE_1)
	s_add_co_i32 s5, s5, s3
	s_cmp_eq_u32 s7, 0
	s_cselect_b32 s3, ttmp9, s5
	s_cmp_gt_i32 s2, -1
	v_lshl_or_b32 v0, s3, 10, v0
	s_cselect_b32 s3, -1, 0
	s_delay_alu instid0(VALU_DEP_1) | instskip(SKIP_1) | instid1(SALU_CYCLE_1)
	v_cmp_gt_i32_e32 vcc_lo, s6, v0
	s_and_b32 s3, s3, vcc_lo
	s_and_saveexec_b32 s5, s3
	s_cbranch_execz .LBB4_5
; %bb.3:
	s_abs_i32 s3, s6
	s_abs_i32 s8, s4
	s_cvt_f32_u32 s5, s3
	s_sub_co_i32 s7, 0, s3
	s_ashr_i32 s4, s4, 31
	s_delay_alu instid0(SALU_CYCLE_1) | instskip(SKIP_1) | instid1(TRANS32_DEP_1)
	v_rcp_iflag_f32_e32 v1, s5
	v_nop
	v_readfirstlane_b32 s5, v1
	s_mul_f32 s5, s5, 0x4f7ffffe
	s_delay_alu instid0(SALU_CYCLE_3) | instskip(NEXT) | instid1(SALU_CYCLE_3)
	s_cvt_u32_f32 s5, s5
	s_mul_i32 s7, s7, s5
	s_delay_alu instid0(SALU_CYCLE_1) | instskip(NEXT) | instid1(SALU_CYCLE_1)
	s_mul_hi_u32 s7, s5, s7
	s_add_co_i32 s5, s5, s7
	s_delay_alu instid0(SALU_CYCLE_1) | instskip(NEXT) | instid1(SALU_CYCLE_1)
	s_mul_hi_u32 s5, s8, s5
	s_mul_i32 s5, s5, s3
	s_delay_alu instid0(SALU_CYCLE_1) | instskip(NEXT) | instid1(SALU_CYCLE_1)
	s_sub_co_i32 s5, s8, s5
	s_sub_co_i32 s7, s5, s3
	s_cmp_ge_u32 s5, s3
	s_cselect_b32 s5, s7, s5
	s_delay_alu instid0(SALU_CYCLE_1) | instskip(SKIP_2) | instid1(SALU_CYCLE_1)
	s_sub_co_i32 s7, s5, s3
	s_cmp_ge_u32 s5, s3
	s_cselect_b32 s3, s7, s5
	s_xor_b32 s3, s3, s4
	s_delay_alu instid0(SALU_CYCLE_1) | instskip(NEXT) | instid1(SALU_CYCLE_1)
	s_sub_co_i32 s3, s3, s4
	v_cmp_le_i32_e32 vcc_lo, s3, v0
	s_cmp_gt_i32 s3, 0
	s_cselect_b32 s3, -1, 0
	s_delay_alu instid0(SALU_CYCLE_1) | instskip(NEXT) | instid1(SALU_CYCLE_1)
	s_and_b32 s3, s3, vcc_lo
	s_and_b32 exec_lo, exec_lo, s3
	s_cbranch_execz .LBB4_5
; %bb.4:
	s_load_b64 s[4:5], s[0:1], 0xc
	v_mad_u32 v1, s2, s6, v0
	s_wait_xcnt 0x0
	s_load_b64 s[0:1], s[0:1], 0x18
	s_delay_alu instid0(VALU_DEP_1)
	v_mad_u32 v2, v1, s6, v0
	s_wait_kmcnt 0x0
	v_mov_b64_e32 v[0:1], s[4:5]
	global_store_b64 v2, v[0:1], s[0:1] scale_offset
.LBB4_5:
	s_endpgm
	.section	.rodata,"a",@progbits
	.p2align	6, 0x0
	.amdhsa_kernel _ZN9rocsparseL26bsrpad_value_kernel_sortedILi1024E21rocsparse_complex_numIfEEEviiiT0_21rocsparse_index_base_PS3_PKiS7_
		.amdhsa_group_segment_fixed_size 0
		.amdhsa_private_segment_fixed_size 0
		.amdhsa_kernarg_size 48
		.amdhsa_user_sgpr_count 2
		.amdhsa_user_sgpr_dispatch_ptr 0
		.amdhsa_user_sgpr_queue_ptr 0
		.amdhsa_user_sgpr_kernarg_segment_ptr 1
		.amdhsa_user_sgpr_dispatch_id 0
		.amdhsa_user_sgpr_kernarg_preload_length 0
		.amdhsa_user_sgpr_kernarg_preload_offset 0
		.amdhsa_user_sgpr_private_segment_size 0
		.amdhsa_wavefront_size32 1
		.amdhsa_uses_dynamic_stack 0
		.amdhsa_enable_private_segment 0
		.amdhsa_system_sgpr_workgroup_id_x 1
		.amdhsa_system_sgpr_workgroup_id_y 0
		.amdhsa_system_sgpr_workgroup_id_z 0
		.amdhsa_system_sgpr_workgroup_info 0
		.amdhsa_system_vgpr_workitem_id 0
		.amdhsa_next_free_vgpr 3
		.amdhsa_next_free_sgpr 12
		.amdhsa_named_barrier_count 0
		.amdhsa_reserve_vcc 1
		.amdhsa_float_round_mode_32 0
		.amdhsa_float_round_mode_16_64 0
		.amdhsa_float_denorm_mode_32 3
		.amdhsa_float_denorm_mode_16_64 3
		.amdhsa_fp16_overflow 0
		.amdhsa_memory_ordered 1
		.amdhsa_forward_progress 1
		.amdhsa_inst_pref_size 4
		.amdhsa_round_robin_scheduling 0
		.amdhsa_exception_fp_ieee_invalid_op 0
		.amdhsa_exception_fp_denorm_src 0
		.amdhsa_exception_fp_ieee_div_zero 0
		.amdhsa_exception_fp_ieee_overflow 0
		.amdhsa_exception_fp_ieee_underflow 0
		.amdhsa_exception_fp_ieee_inexact 0
		.amdhsa_exception_int_div_zero 0
	.end_amdhsa_kernel
	.section	.text._ZN9rocsparseL26bsrpad_value_kernel_sortedILi1024E21rocsparse_complex_numIfEEEviiiT0_21rocsparse_index_base_PS3_PKiS7_,"axG",@progbits,_ZN9rocsparseL26bsrpad_value_kernel_sortedILi1024E21rocsparse_complex_numIfEEEviiiT0_21rocsparse_index_base_PS3_PKiS7_,comdat
.Lfunc_end4:
	.size	_ZN9rocsparseL26bsrpad_value_kernel_sortedILi1024E21rocsparse_complex_numIfEEEviiiT0_21rocsparse_index_base_PS3_PKiS7_, .Lfunc_end4-_ZN9rocsparseL26bsrpad_value_kernel_sortedILi1024E21rocsparse_complex_numIfEEEviiiT0_21rocsparse_index_base_PS3_PKiS7_
                                        ; -- End function
	.set _ZN9rocsparseL26bsrpad_value_kernel_sortedILi1024E21rocsparse_complex_numIfEEEviiiT0_21rocsparse_index_base_PS3_PKiS7_.num_vgpr, 3
	.set _ZN9rocsparseL26bsrpad_value_kernel_sortedILi1024E21rocsparse_complex_numIfEEEviiiT0_21rocsparse_index_base_PS3_PKiS7_.num_agpr, 0
	.set _ZN9rocsparseL26bsrpad_value_kernel_sortedILi1024E21rocsparse_complex_numIfEEEviiiT0_21rocsparse_index_base_PS3_PKiS7_.numbered_sgpr, 12
	.set _ZN9rocsparseL26bsrpad_value_kernel_sortedILi1024E21rocsparse_complex_numIfEEEviiiT0_21rocsparse_index_base_PS3_PKiS7_.num_named_barrier, 0
	.set _ZN9rocsparseL26bsrpad_value_kernel_sortedILi1024E21rocsparse_complex_numIfEEEviiiT0_21rocsparse_index_base_PS3_PKiS7_.private_seg_size, 0
	.set _ZN9rocsparseL26bsrpad_value_kernel_sortedILi1024E21rocsparse_complex_numIfEEEviiiT0_21rocsparse_index_base_PS3_PKiS7_.uses_vcc, 1
	.set _ZN9rocsparseL26bsrpad_value_kernel_sortedILi1024E21rocsparse_complex_numIfEEEviiiT0_21rocsparse_index_base_PS3_PKiS7_.uses_flat_scratch, 0
	.set _ZN9rocsparseL26bsrpad_value_kernel_sortedILi1024E21rocsparse_complex_numIfEEEviiiT0_21rocsparse_index_base_PS3_PKiS7_.has_dyn_sized_stack, 0
	.set _ZN9rocsparseL26bsrpad_value_kernel_sortedILi1024E21rocsparse_complex_numIfEEEviiiT0_21rocsparse_index_base_PS3_PKiS7_.has_recursion, 0
	.set _ZN9rocsparseL26bsrpad_value_kernel_sortedILi1024E21rocsparse_complex_numIfEEEviiiT0_21rocsparse_index_base_PS3_PKiS7_.has_indirect_call, 0
	.section	.AMDGPU.csdata,"",@progbits
; Kernel info:
; codeLenInByte = 460
; TotalNumSgprs: 14
; NumVgprs: 3
; ScratchSize: 0
; MemoryBound: 0
; FloatMode: 240
; IeeeMode: 1
; LDSByteSize: 0 bytes/workgroup (compile time only)
; SGPRBlocks: 0
; VGPRBlocks: 0
; NumSGPRsForWavesPerEU: 14
; NumVGPRsForWavesPerEU: 3
; NamedBarCnt: 0
; Occupancy: 16
; WaveLimiterHint : 1
; COMPUTE_PGM_RSRC2:SCRATCH_EN: 0
; COMPUTE_PGM_RSRC2:USER_SGPR: 2
; COMPUTE_PGM_RSRC2:TRAP_HANDLER: 0
; COMPUTE_PGM_RSRC2:TGID_X_EN: 1
; COMPUTE_PGM_RSRC2:TGID_Y_EN: 0
; COMPUTE_PGM_RSRC2:TGID_Z_EN: 0
; COMPUTE_PGM_RSRC2:TIDIG_COMP_CNT: 0
	.section	.text._ZN9rocsparseL28bsrpad_value_kernel_unsortedILi1024E21rocsparse_complex_numIfEEEviiiT0_21rocsparse_index_base_PS3_PKiS7_,"axG",@progbits,_ZN9rocsparseL28bsrpad_value_kernel_unsortedILi1024E21rocsparse_complex_numIfEEEviiiT0_21rocsparse_index_base_PS3_PKiS7_,comdat
	.globl	_ZN9rocsparseL28bsrpad_value_kernel_unsortedILi1024E21rocsparse_complex_numIfEEEviiiT0_21rocsparse_index_base_PS3_PKiS7_ ; -- Begin function _ZN9rocsparseL28bsrpad_value_kernel_unsortedILi1024E21rocsparse_complex_numIfEEEviiiT0_21rocsparse_index_base_PS3_PKiS7_
	.p2align	8
	.type	_ZN9rocsparseL28bsrpad_value_kernel_unsortedILi1024E21rocsparse_complex_numIfEEEviiiT0_21rocsparse_index_base_PS3_PKiS7_,@function
_ZN9rocsparseL28bsrpad_value_kernel_unsortedILi1024E21rocsparse_complex_numIfEEEviiiT0_21rocsparse_index_base_PS3_PKiS7_: ; @_ZN9rocsparseL28bsrpad_value_kernel_unsortedILi1024E21rocsparse_complex_numIfEEEviiiT0_21rocsparse_index_base_PS3_PKiS7_
; %bb.0:
	s_load_b64 s[2:3], s[0:1], 0x20
	s_mov_b32 s4, exec_lo
	v_cmpx_eq_u32_e32 0, v0
; %bb.1:
	v_dual_mov_b32 v1, -1 :: v_dual_mov_b32 v2, 0
	ds_store_b32 v2, v1
; %bb.2:
	s_or_b32 exec_lo, exec_lo, s4
	s_clause 0x1
	s_load_b96 s[4:6], s[0:1], 0x0
	s_load_b32 s7, s[0:1], 0x14
	s_mov_b32 s10, exec_lo
	s_wait_kmcnt 0x0
	s_ashr_i32 s9, s5, 31
	s_mov_b32 s8, s5
	v_subrev_nc_u32_e32 v1, s7, v0
	s_lshl_b64 s[8:9], s[8:9], 2
	s_delay_alu instid0(SALU_CYCLE_1) | instskip(NEXT) | instid1(SALU_CYCLE_1)
	s_add_nc_u64 s[2:3], s[2:3], s[8:9]
	s_add_nc_u64 s[8:9], s[2:3], -4
	s_load_b64 s[2:3], s[8:9], 0x0
	s_wait_dscnt 0x0
	s_barrier_signal -1
	s_barrier_wait -1
	s_wait_kmcnt 0x0
	v_add_nc_u32_e32 v2, s2, v1
	s_sub_co_i32 s3, s3, s7
	s_delay_alu instid0(VALU_DEP_1) | instid1(SALU_CYCLE_1)
	v_cmpx_gt_i32_e64 s3, v2
	s_cbranch_execz .LBB5_14
; %bb.3:
	v_add_nc_u32_e32 v1, s2, v0
	s_load_b64 s[8:9], s[0:1], 0x28
	v_not_b32_e32 v3, v0
	s_add_co_i32 s5, s5, -1
	s_mov_b32 s11, exec_lo
	v_subrev_nc_u32_e32 v1, s7, v1
	s_delay_alu instid0(VALU_DEP_1) | instskip(NEXT) | instid1(VALU_DEP_1)
	v_add_max_i32_e64 v1, 0x400, v1, s3
	v_add3_u32 v1, s7, v1, v3
	s_delay_alu instid0(VALU_DEP_1) | instskip(SKIP_1) | instid1(VALU_DEP_1)
	v_subrev_nc_u32_e32 v1, s2, v1
	s_mov_b32 s2, -1
	v_cmpx_lt_u32_e32 0x3ff, v1
	s_cbranch_execz .LBB5_9
; %bb.4:
	v_dual_lshrrev_b32 v1, 10, v1 :: v_dual_mov_b32 v7, 0
	v_add_nc_u32_e32 v3, 0x400, v2
	s_mov_b32 s12, s7
	s_mov_b32 s14, s5
	s_delay_alu instid0(VALU_DEP_2) | instskip(NEXT) | instid1(VALU_DEP_2)
	v_dual_mov_b32 v8, v2 :: v_dual_add_nc_u32 v1, 1, v1
	v_mov_b64_e32 v[4:5], v[2:3]
	s_mov_b32 s13, 0
	s_delay_alu instid0(VALU_DEP_2) | instskip(NEXT) | instid1(VALU_DEP_1)
	v_and_b32_e32 v6, 0x7ffffe, v1
	v_mov_b32_e32 v9, v6
	s_branch .LBB5_6
.LBB5_5:                                ;   in Loop: Header=BB5_6 Depth=1
	s_or_b32 exec_lo, exec_lo, s2
	v_add_nc_u32_e32 v9, -2, v9
	v_add_nc_u32_e32 v5, 0x800, v5
	v_add_nc_u32_e32 v4, 0x800, v4
	;; [unrolled: 1-line block ×3, first 2 shown]
	s_delay_alu instid0(VALU_DEP_4) | instskip(SKIP_1) | instid1(SALU_CYCLE_1)
	v_cmp_eq_u32_e32 vcc_lo, 0, v9
	s_or_b32 s13, vcc_lo, s13
	s_and_not1_b32 exec_lo, exec_lo, s13
	s_cbranch_execz .LBB5_8
.LBB5_6:                                ; =>This Inner Loop Header: Depth=1
	s_wait_kmcnt 0x0
	s_clause 0x1
	global_load_b32 v3, v5, s[8:9] scale_offset
	global_load_b32 v10, v4, s[8:9] scale_offset
	s_wait_loadcnt 0x1
	v_subrev_nc_u32_e32 v3, s12, v3
	s_wait_loadcnt 0x0
	v_subrev_nc_u32_e32 v10, s7, v10
	s_delay_alu instid0(VALU_DEP_2) | instskip(NEXT) | instid1(VALU_DEP_2)
	v_cmp_eq_u32_e32 vcc_lo, s14, v3
	v_cmp_eq_u32_e64 s2, s5, v10
	s_or_b32 s15, s2, vcc_lo
	s_wait_xcnt 0x0
	s_and_saveexec_b32 s2, s15
	s_cbranch_execz .LBB5_5
; %bb.7:                                ;   in Loop: Header=BB5_6 Depth=1
	v_add_nc_u32_e32 v3, 0x400, v8
	s_delay_alu instid0(VALU_DEP_1)
	v_cndmask_b32_e32 v3, v8, v3, vcc_lo
	ds_store_b32 v7, v3
	s_branch .LBB5_5
.LBB5_8:
	s_or_b32 exec_lo, exec_lo, s13
	v_cmp_ne_u32_e32 vcc_lo, v1, v6
	v_lshl_add_u32 v2, v6, 10, v2
	s_or_not1_b32 s2, vcc_lo, exec_lo
.LBB5_9:
	s_or_b32 exec_lo, exec_lo, s11
	s_delay_alu instid0(SALU_CYCLE_1)
	s_and_b32 exec_lo, exec_lo, s2
	s_cbranch_execz .LBB5_14
; %bb.10:
	v_dual_ashrrev_i32 v3, 31, v2 :: v_dual_mov_b32 v1, 0
	s_mov_b32 s2, 0
	s_wait_kmcnt 0x0
	s_delay_alu instid0(VALU_DEP_1)
	v_lshl_add_u64 v[4:5], v[2:3], 2, s[8:9]
	s_branch .LBB5_12
.LBB5_11:                               ;   in Loop: Header=BB5_12 Depth=1
	s_or_b32 exec_lo, exec_lo, s8
	v_add_nc_u32_e32 v2, 0x400, v2
	v_add_nc_u64_e32 v[4:5], 0x1000, v[4:5]
	s_delay_alu instid0(VALU_DEP_2) | instskip(SKIP_1) | instid1(SALU_CYCLE_1)
	v_cmp_le_i32_e32 vcc_lo, s3, v2
	s_or_b32 s2, vcc_lo, s2
	s_and_not1_b32 exec_lo, exec_lo, s2
	s_cbranch_execz .LBB5_14
.LBB5_12:                               ; =>This Inner Loop Header: Depth=1
	global_load_b32 v3, v[4:5], off
	s_mov_b32 s8, exec_lo
	s_wait_loadcnt 0x0
	v_subrev_nc_u32_e32 v3, s7, v3
	s_delay_alu instid0(VALU_DEP_1)
	v_cmpx_eq_u32_e64 s5, v3
	s_cbranch_execz .LBB5_11
; %bb.13:                               ;   in Loop: Header=BB5_12 Depth=1
	ds_store_b32 v1, v2
	s_branch .LBB5_11
.LBB5_14:
	s_or_b32 exec_lo, exec_lo, s10
	v_mov_b32_e32 v1, 0
	s_wait_dscnt 0x0
	s_barrier_signal -1
	s_barrier_wait -1
	ds_load_b32 v1, v1
	s_bfe_u32 s2, ttmp6, 0x4000c
	s_and_b32 s3, ttmp6, 15
	s_add_co_i32 s2, s2, 1
	s_getreg_b32 s5, hwreg(HW_REG_IB_STS2, 6, 4)
	s_mul_i32 s2, ttmp9, s2
	s_delay_alu instid0(SALU_CYCLE_1) | instskip(SKIP_2) | instid1(SALU_CYCLE_1)
	s_add_co_i32 s3, s3, s2
	s_cmp_eq_u32 s5, 0
	s_cselect_b32 s2, ttmp9, s3
	v_lshl_or_b32 v0, s2, 10, v0
	s_delay_alu instid0(VALU_DEP_1) | instskip(SKIP_4) | instid1(SALU_CYCLE_1)
	v_cmp_gt_i32_e32 vcc_lo, s6, v0
	s_wait_dscnt 0x0
	v_readfirstlane_b32 s2, v1
	s_cmp_gt_i32 s2, -1
	s_cselect_b32 s2, -1, 0
	s_and_b32 s2, s2, vcc_lo
	s_delay_alu instid0(SALU_CYCLE_1)
	s_and_saveexec_b32 s3, s2
	s_cbranch_execz .LBB5_17
; %bb.15:
	s_abs_i32 s2, s6
	s_abs_i32 s7, s4
	s_cvt_f32_u32 s3, s2
	s_sub_co_i32 s5, 0, s2
	s_ashr_i32 s4, s4, 31
	s_delay_alu instid0(SALU_CYCLE_1) | instskip(SKIP_1) | instid1(TRANS32_DEP_1)
	v_rcp_iflag_f32_e32 v2, s3
	v_nop
	v_readfirstlane_b32 s3, v2
	s_mul_f32 s3, s3, 0x4f7ffffe
	s_delay_alu instid0(SALU_CYCLE_3) | instskip(NEXT) | instid1(SALU_CYCLE_3)
	s_cvt_u32_f32 s3, s3
	s_mul_i32 s5, s5, s3
	s_delay_alu instid0(SALU_CYCLE_1) | instskip(NEXT) | instid1(SALU_CYCLE_1)
	s_mul_hi_u32 s5, s3, s5
	s_add_co_i32 s3, s3, s5
	s_delay_alu instid0(SALU_CYCLE_1) | instskip(NEXT) | instid1(SALU_CYCLE_1)
	s_mul_hi_u32 s3, s7, s3
	s_mul_i32 s3, s3, s2
	s_delay_alu instid0(SALU_CYCLE_1) | instskip(NEXT) | instid1(SALU_CYCLE_1)
	s_sub_co_i32 s3, s7, s3
	s_sub_co_i32 s5, s3, s2
	s_cmp_ge_u32 s3, s2
	s_cselect_b32 s3, s5, s3
	s_delay_alu instid0(SALU_CYCLE_1) | instskip(SKIP_2) | instid1(SALU_CYCLE_1)
	s_sub_co_i32 s5, s3, s2
	s_cmp_ge_u32 s3, s2
	s_cselect_b32 s2, s5, s3
	s_xor_b32 s2, s2, s4
	s_delay_alu instid0(SALU_CYCLE_1) | instskip(NEXT) | instid1(SALU_CYCLE_1)
	s_sub_co_i32 s2, s2, s4
	v_cmp_le_i32_e32 vcc_lo, s2, v0
	s_cmp_gt_i32 s2, 0
	s_cselect_b32 s2, -1, 0
	s_delay_alu instid0(SALU_CYCLE_1) | instskip(NEXT) | instid1(SALU_CYCLE_1)
	s_and_b32 s2, s2, vcc_lo
	s_and_b32 exec_lo, exec_lo, s2
	s_cbranch_execz .LBB5_17
; %bb.16:
	s_load_b64 s[2:3], s[0:1], 0xc
	v_mad_u32 v1, v1, s6, v0
	s_wait_xcnt 0x0
	s_load_b64 s[0:1], s[0:1], 0x18
	s_delay_alu instid0(VALU_DEP_1)
	v_mad_u32 v2, v1, s6, v0
	s_wait_kmcnt 0x0
	v_mov_b64_e32 v[0:1], s[2:3]
	global_store_b64 v2, v[0:1], s[0:1] scale_offset
.LBB5_17:
	s_endpgm
	.section	.rodata,"a",@progbits
	.p2align	6, 0x0
	.amdhsa_kernel _ZN9rocsparseL28bsrpad_value_kernel_unsortedILi1024E21rocsparse_complex_numIfEEEviiiT0_21rocsparse_index_base_PS3_PKiS7_
		.amdhsa_group_segment_fixed_size 4
		.amdhsa_private_segment_fixed_size 0
		.amdhsa_kernarg_size 48
		.amdhsa_user_sgpr_count 2
		.amdhsa_user_sgpr_dispatch_ptr 0
		.amdhsa_user_sgpr_queue_ptr 0
		.amdhsa_user_sgpr_kernarg_segment_ptr 1
		.amdhsa_user_sgpr_dispatch_id 0
		.amdhsa_user_sgpr_kernarg_preload_length 0
		.amdhsa_user_sgpr_kernarg_preload_offset 0
		.amdhsa_user_sgpr_private_segment_size 0
		.amdhsa_wavefront_size32 1
		.amdhsa_uses_dynamic_stack 0
		.amdhsa_enable_private_segment 0
		.amdhsa_system_sgpr_workgroup_id_x 1
		.amdhsa_system_sgpr_workgroup_id_y 0
		.amdhsa_system_sgpr_workgroup_id_z 0
		.amdhsa_system_sgpr_workgroup_info 0
		.amdhsa_system_vgpr_workitem_id 0
		.amdhsa_next_free_vgpr 11
		.amdhsa_next_free_sgpr 16
		.amdhsa_named_barrier_count 0
		.amdhsa_reserve_vcc 1
		.amdhsa_float_round_mode_32 0
		.amdhsa_float_round_mode_16_64 0
		.amdhsa_float_denorm_mode_32 3
		.amdhsa_float_denorm_mode_16_64 3
		.amdhsa_fp16_overflow 0
		.amdhsa_memory_ordered 1
		.amdhsa_forward_progress 1
		.amdhsa_inst_pref_size 8
		.amdhsa_round_robin_scheduling 0
		.amdhsa_exception_fp_ieee_invalid_op 0
		.amdhsa_exception_fp_denorm_src 0
		.amdhsa_exception_fp_ieee_div_zero 0
		.amdhsa_exception_fp_ieee_overflow 0
		.amdhsa_exception_fp_ieee_underflow 0
		.amdhsa_exception_fp_ieee_inexact 0
		.amdhsa_exception_int_div_zero 0
	.end_amdhsa_kernel
	.section	.text._ZN9rocsparseL28bsrpad_value_kernel_unsortedILi1024E21rocsparse_complex_numIfEEEviiiT0_21rocsparse_index_base_PS3_PKiS7_,"axG",@progbits,_ZN9rocsparseL28bsrpad_value_kernel_unsortedILi1024E21rocsparse_complex_numIfEEEviiiT0_21rocsparse_index_base_PS3_PKiS7_,comdat
.Lfunc_end5:
	.size	_ZN9rocsparseL28bsrpad_value_kernel_unsortedILi1024E21rocsparse_complex_numIfEEEviiiT0_21rocsparse_index_base_PS3_PKiS7_, .Lfunc_end5-_ZN9rocsparseL28bsrpad_value_kernel_unsortedILi1024E21rocsparse_complex_numIfEEEviiiT0_21rocsparse_index_base_PS3_PKiS7_
                                        ; -- End function
	.set _ZN9rocsparseL28bsrpad_value_kernel_unsortedILi1024E21rocsparse_complex_numIfEEEviiiT0_21rocsparse_index_base_PS3_PKiS7_.num_vgpr, 11
	.set _ZN9rocsparseL28bsrpad_value_kernel_unsortedILi1024E21rocsparse_complex_numIfEEEviiiT0_21rocsparse_index_base_PS3_PKiS7_.num_agpr, 0
	.set _ZN9rocsparseL28bsrpad_value_kernel_unsortedILi1024E21rocsparse_complex_numIfEEEviiiT0_21rocsparse_index_base_PS3_PKiS7_.numbered_sgpr, 16
	.set _ZN9rocsparseL28bsrpad_value_kernel_unsortedILi1024E21rocsparse_complex_numIfEEEviiiT0_21rocsparse_index_base_PS3_PKiS7_.num_named_barrier, 0
	.set _ZN9rocsparseL28bsrpad_value_kernel_unsortedILi1024E21rocsparse_complex_numIfEEEviiiT0_21rocsparse_index_base_PS3_PKiS7_.private_seg_size, 0
	.set _ZN9rocsparseL28bsrpad_value_kernel_unsortedILi1024E21rocsparse_complex_numIfEEEviiiT0_21rocsparse_index_base_PS3_PKiS7_.uses_vcc, 1
	.set _ZN9rocsparseL28bsrpad_value_kernel_unsortedILi1024E21rocsparse_complex_numIfEEEviiiT0_21rocsparse_index_base_PS3_PKiS7_.uses_flat_scratch, 0
	.set _ZN9rocsparseL28bsrpad_value_kernel_unsortedILi1024E21rocsparse_complex_numIfEEEviiiT0_21rocsparse_index_base_PS3_PKiS7_.has_dyn_sized_stack, 0
	.set _ZN9rocsparseL28bsrpad_value_kernel_unsortedILi1024E21rocsparse_complex_numIfEEEviiiT0_21rocsparse_index_base_PS3_PKiS7_.has_recursion, 0
	.set _ZN9rocsparseL28bsrpad_value_kernel_unsortedILi1024E21rocsparse_complex_numIfEEEviiiT0_21rocsparse_index_base_PS3_PKiS7_.has_indirect_call, 0
	.section	.AMDGPU.csdata,"",@progbits
; Kernel info:
; codeLenInByte = 944
; TotalNumSgprs: 18
; NumVgprs: 11
; ScratchSize: 0
; MemoryBound: 0
; FloatMode: 240
; IeeeMode: 1
; LDSByteSize: 4 bytes/workgroup (compile time only)
; SGPRBlocks: 0
; VGPRBlocks: 0
; NumSGPRsForWavesPerEU: 18
; NumVGPRsForWavesPerEU: 11
; NamedBarCnt: 0
; Occupancy: 16
; WaveLimiterHint : 0
; COMPUTE_PGM_RSRC2:SCRATCH_EN: 0
; COMPUTE_PGM_RSRC2:USER_SGPR: 2
; COMPUTE_PGM_RSRC2:TRAP_HANDLER: 0
; COMPUTE_PGM_RSRC2:TGID_X_EN: 1
; COMPUTE_PGM_RSRC2:TGID_Y_EN: 0
; COMPUTE_PGM_RSRC2:TGID_Z_EN: 0
; COMPUTE_PGM_RSRC2:TIDIG_COMP_CNT: 0
	.section	.text._ZN9rocsparseL26bsrpad_value_kernel_sortedILi1024E21rocsparse_complex_numIdEEEviiiT0_21rocsparse_index_base_PS3_PKiS7_,"axG",@progbits,_ZN9rocsparseL26bsrpad_value_kernel_sortedILi1024E21rocsparse_complex_numIdEEEviiiT0_21rocsparse_index_base_PS3_PKiS7_,comdat
	.globl	_ZN9rocsparseL26bsrpad_value_kernel_sortedILi1024E21rocsparse_complex_numIdEEEviiiT0_21rocsparse_index_base_PS3_PKiS7_ ; -- Begin function _ZN9rocsparseL26bsrpad_value_kernel_sortedILi1024E21rocsparse_complex_numIdEEEviiiT0_21rocsparse_index_base_PS3_PKiS7_
	.p2align	8
	.type	_ZN9rocsparseL26bsrpad_value_kernel_sortedILi1024E21rocsparse_complex_numIdEEEviiiT0_21rocsparse_index_base_PS3_PKiS7_,@function
_ZN9rocsparseL26bsrpad_value_kernel_sortedILi1024E21rocsparse_complex_numIdEEEviiiT0_21rocsparse_index_base_PS3_PKiS7_: ; @_ZN9rocsparseL26bsrpad_value_kernel_sortedILi1024E21rocsparse_complex_numIdEEEviiiT0_21rocsparse_index_base_PS3_PKiS7_
; %bb.0:
	s_clause 0x1
	s_load_b96 s[4:6], s[0:1], 0x0
	s_load_b64 s[2:3], s[0:1], 0x30
	s_wait_kmcnt 0x0
	s_ashr_i32 s9, s5, 31
	s_mov_b32 s8, s5
	s_delay_alu instid0(SALU_CYCLE_1) | instskip(NEXT) | instid1(SALU_CYCLE_1)
	s_lshl_b64 s[8:9], s[8:9], 2
	s_add_nc_u64 s[2:3], s[2:3], s[8:9]
	s_delay_alu instid0(SALU_CYCLE_1) | instskip(SKIP_3) | instid1(SALU_CYCLE_1)
	s_add_nc_u64 s[8:9], s[2:3], -4
	s_load_b64 s[2:3], s[8:9], 0x0
	s_wait_kmcnt 0x0
	s_sub_co_i32 s2, s3, s2
	s_cmp_lt_i32 s2, 1
	s_mov_b32 s2, -1
	s_cbranch_scc1 .LBB6_2
; %bb.1:
	s_clause 0x1
	s_load_b32 s7, s[0:1], 0x20
	s_load_b64 s[8:9], s[0:1], 0x38
	s_add_co_i32 s5, s5, -1
	s_wait_kmcnt 0x0
	s_not_b32 s2, s7
	s_delay_alu instid0(SALU_CYCLE_1) | instskip(NEXT) | instid1(SALU_CYCLE_1)
	s_add_co_i32 s2, s3, s2
	s_ashr_i32 s3, s2, 31
	s_delay_alu instid0(SALU_CYCLE_1) | instskip(NEXT) | instid1(SALU_CYCLE_1)
	s_lshl_b64 s[10:11], s[2:3], 2
	s_add_nc_u64 s[8:9], s[8:9], s[10:11]
	s_load_b32 s3, s[8:9], 0x0
	s_wait_kmcnt 0x0
	s_sub_co_i32 s3, s3, s7
	s_delay_alu instid0(SALU_CYCLE_1)
	s_cmp_eq_u32 s3, s5
	s_cselect_b32 s2, s2, -1
.LBB6_2:
	s_bfe_u32 s3, ttmp6, 0x4000c
	s_and_b32 s5, ttmp6, 15
	s_add_co_i32 s3, s3, 1
	s_getreg_b32 s7, hwreg(HW_REG_IB_STS2, 6, 4)
	s_mul_i32 s3, ttmp9, s3
	s_delay_alu instid0(SALU_CYCLE_1)
	s_add_co_i32 s5, s5, s3
	s_cmp_eq_u32 s7, 0
	s_cselect_b32 s3, ttmp9, s5
	s_cmp_gt_i32 s2, -1
	v_lshl_or_b32 v0, s3, 10, v0
	s_cselect_b32 s3, -1, 0
	s_delay_alu instid0(VALU_DEP_1) | instskip(SKIP_1) | instid1(SALU_CYCLE_1)
	v_cmp_gt_i32_e32 vcc_lo, s6, v0
	s_and_b32 s3, s3, vcc_lo
	s_and_saveexec_b32 s5, s3
	s_cbranch_execz .LBB6_5
; %bb.3:
	s_abs_i32 s3, s6
	s_abs_i32 s8, s4
	s_cvt_f32_u32 s5, s3
	s_sub_co_i32 s7, 0, s3
	s_ashr_i32 s4, s4, 31
	s_delay_alu instid0(SALU_CYCLE_1) | instskip(SKIP_1) | instid1(TRANS32_DEP_1)
	v_rcp_iflag_f32_e32 v1, s5
	v_nop
	v_readfirstlane_b32 s5, v1
	s_mul_f32 s5, s5, 0x4f7ffffe
	s_delay_alu instid0(SALU_CYCLE_3) | instskip(NEXT) | instid1(SALU_CYCLE_3)
	s_cvt_u32_f32 s5, s5
	s_mul_i32 s7, s7, s5
	s_delay_alu instid0(SALU_CYCLE_1) | instskip(NEXT) | instid1(SALU_CYCLE_1)
	s_mul_hi_u32 s7, s5, s7
	s_add_co_i32 s5, s5, s7
	s_delay_alu instid0(SALU_CYCLE_1) | instskip(NEXT) | instid1(SALU_CYCLE_1)
	s_mul_hi_u32 s5, s8, s5
	s_mul_i32 s5, s5, s3
	s_delay_alu instid0(SALU_CYCLE_1) | instskip(NEXT) | instid1(SALU_CYCLE_1)
	s_sub_co_i32 s5, s8, s5
	s_sub_co_i32 s7, s5, s3
	s_cmp_ge_u32 s5, s3
	s_cselect_b32 s5, s7, s5
	s_delay_alu instid0(SALU_CYCLE_1) | instskip(SKIP_2) | instid1(SALU_CYCLE_1)
	s_sub_co_i32 s7, s5, s3
	s_cmp_ge_u32 s5, s3
	s_cselect_b32 s3, s7, s5
	s_xor_b32 s3, s3, s4
	s_delay_alu instid0(SALU_CYCLE_1) | instskip(NEXT) | instid1(SALU_CYCLE_1)
	s_sub_co_i32 s3, s3, s4
	v_cmp_le_i32_e32 vcc_lo, s3, v0
	s_cmp_gt_i32 s3, 0
	s_cselect_b32 s3, -1, 0
	s_delay_alu instid0(SALU_CYCLE_1) | instskip(NEXT) | instid1(SALU_CYCLE_1)
	s_and_b32 s3, s3, vcc_lo
	s_and_b32 exec_lo, exec_lo, s3
	s_cbranch_execz .LBB6_5
; %bb.4:
	s_load_b128 s[8:11], s[0:1], 0x10
	v_mad_u32 v1, s2, s6, v0
	s_wait_xcnt 0x0
	s_load_b64 s[0:1], s[0:1], 0x28
	s_delay_alu instid0(VALU_DEP_1)
	v_mad_u32 v4, v1, s6, v0
	s_wait_kmcnt 0x0
	v_mov_b64_e32 v[0:1], s[8:9]
	v_mov_b64_e32 v[2:3], s[10:11]
	global_store_b128 v4, v[0:3], s[0:1] scale_offset
.LBB6_5:
	s_endpgm
	.section	.rodata,"a",@progbits
	.p2align	6, 0x0
	.amdhsa_kernel _ZN9rocsparseL26bsrpad_value_kernel_sortedILi1024E21rocsparse_complex_numIdEEEviiiT0_21rocsparse_index_base_PS3_PKiS7_
		.amdhsa_group_segment_fixed_size 0
		.amdhsa_private_segment_fixed_size 0
		.amdhsa_kernarg_size 64
		.amdhsa_user_sgpr_count 2
		.amdhsa_user_sgpr_dispatch_ptr 0
		.amdhsa_user_sgpr_queue_ptr 0
		.amdhsa_user_sgpr_kernarg_segment_ptr 1
		.amdhsa_user_sgpr_dispatch_id 0
		.amdhsa_user_sgpr_kernarg_preload_length 0
		.amdhsa_user_sgpr_kernarg_preload_offset 0
		.amdhsa_user_sgpr_private_segment_size 0
		.amdhsa_wavefront_size32 1
		.amdhsa_uses_dynamic_stack 0
		.amdhsa_enable_private_segment 0
		.amdhsa_system_sgpr_workgroup_id_x 1
		.amdhsa_system_sgpr_workgroup_id_y 0
		.amdhsa_system_sgpr_workgroup_id_z 0
		.amdhsa_system_sgpr_workgroup_info 0
		.amdhsa_system_vgpr_workitem_id 0
		.amdhsa_next_free_vgpr 5
		.amdhsa_next_free_sgpr 12
		.amdhsa_named_barrier_count 0
		.amdhsa_reserve_vcc 1
		.amdhsa_float_round_mode_32 0
		.amdhsa_float_round_mode_16_64 0
		.amdhsa_float_denorm_mode_32 3
		.amdhsa_float_denorm_mode_16_64 3
		.amdhsa_fp16_overflow 0
		.amdhsa_memory_ordered 1
		.amdhsa_forward_progress 1
		.amdhsa_inst_pref_size 4
		.amdhsa_round_robin_scheduling 0
		.amdhsa_exception_fp_ieee_invalid_op 0
		.amdhsa_exception_fp_denorm_src 0
		.amdhsa_exception_fp_ieee_div_zero 0
		.amdhsa_exception_fp_ieee_overflow 0
		.amdhsa_exception_fp_ieee_underflow 0
		.amdhsa_exception_fp_ieee_inexact 0
		.amdhsa_exception_int_div_zero 0
	.end_amdhsa_kernel
	.section	.text._ZN9rocsparseL26bsrpad_value_kernel_sortedILi1024E21rocsparse_complex_numIdEEEviiiT0_21rocsparse_index_base_PS3_PKiS7_,"axG",@progbits,_ZN9rocsparseL26bsrpad_value_kernel_sortedILi1024E21rocsparse_complex_numIdEEEviiiT0_21rocsparse_index_base_PS3_PKiS7_,comdat
.Lfunc_end6:
	.size	_ZN9rocsparseL26bsrpad_value_kernel_sortedILi1024E21rocsparse_complex_numIdEEEviiiT0_21rocsparse_index_base_PS3_PKiS7_, .Lfunc_end6-_ZN9rocsparseL26bsrpad_value_kernel_sortedILi1024E21rocsparse_complex_numIdEEEviiiT0_21rocsparse_index_base_PS3_PKiS7_
                                        ; -- End function
	.set _ZN9rocsparseL26bsrpad_value_kernel_sortedILi1024E21rocsparse_complex_numIdEEEviiiT0_21rocsparse_index_base_PS3_PKiS7_.num_vgpr, 5
	.set _ZN9rocsparseL26bsrpad_value_kernel_sortedILi1024E21rocsparse_complex_numIdEEEviiiT0_21rocsparse_index_base_PS3_PKiS7_.num_agpr, 0
	.set _ZN9rocsparseL26bsrpad_value_kernel_sortedILi1024E21rocsparse_complex_numIdEEEviiiT0_21rocsparse_index_base_PS3_PKiS7_.numbered_sgpr, 12
	.set _ZN9rocsparseL26bsrpad_value_kernel_sortedILi1024E21rocsparse_complex_numIdEEEviiiT0_21rocsparse_index_base_PS3_PKiS7_.num_named_barrier, 0
	.set _ZN9rocsparseL26bsrpad_value_kernel_sortedILi1024E21rocsparse_complex_numIdEEEviiiT0_21rocsparse_index_base_PS3_PKiS7_.private_seg_size, 0
	.set _ZN9rocsparseL26bsrpad_value_kernel_sortedILi1024E21rocsparse_complex_numIdEEEviiiT0_21rocsparse_index_base_PS3_PKiS7_.uses_vcc, 1
	.set _ZN9rocsparseL26bsrpad_value_kernel_sortedILi1024E21rocsparse_complex_numIdEEEviiiT0_21rocsparse_index_base_PS3_PKiS7_.uses_flat_scratch, 0
	.set _ZN9rocsparseL26bsrpad_value_kernel_sortedILi1024E21rocsparse_complex_numIdEEEviiiT0_21rocsparse_index_base_PS3_PKiS7_.has_dyn_sized_stack, 0
	.set _ZN9rocsparseL26bsrpad_value_kernel_sortedILi1024E21rocsparse_complex_numIdEEEviiiT0_21rocsparse_index_base_PS3_PKiS7_.has_recursion, 0
	.set _ZN9rocsparseL26bsrpad_value_kernel_sortedILi1024E21rocsparse_complex_numIdEEEviiiT0_21rocsparse_index_base_PS3_PKiS7_.has_indirect_call, 0
	.section	.AMDGPU.csdata,"",@progbits
; Kernel info:
; codeLenInByte = 464
; TotalNumSgprs: 14
; NumVgprs: 5
; ScratchSize: 0
; MemoryBound: 0
; FloatMode: 240
; IeeeMode: 1
; LDSByteSize: 0 bytes/workgroup (compile time only)
; SGPRBlocks: 0
; VGPRBlocks: 0
; NumSGPRsForWavesPerEU: 14
; NumVGPRsForWavesPerEU: 5
; NamedBarCnt: 0
; Occupancy: 16
; WaveLimiterHint : 1
; COMPUTE_PGM_RSRC2:SCRATCH_EN: 0
; COMPUTE_PGM_RSRC2:USER_SGPR: 2
; COMPUTE_PGM_RSRC2:TRAP_HANDLER: 0
; COMPUTE_PGM_RSRC2:TGID_X_EN: 1
; COMPUTE_PGM_RSRC2:TGID_Y_EN: 0
; COMPUTE_PGM_RSRC2:TGID_Z_EN: 0
; COMPUTE_PGM_RSRC2:TIDIG_COMP_CNT: 0
	.section	.text._ZN9rocsparseL28bsrpad_value_kernel_unsortedILi1024E21rocsparse_complex_numIdEEEviiiT0_21rocsparse_index_base_PS3_PKiS7_,"axG",@progbits,_ZN9rocsparseL28bsrpad_value_kernel_unsortedILi1024E21rocsparse_complex_numIdEEEviiiT0_21rocsparse_index_base_PS3_PKiS7_,comdat
	.globl	_ZN9rocsparseL28bsrpad_value_kernel_unsortedILi1024E21rocsparse_complex_numIdEEEviiiT0_21rocsparse_index_base_PS3_PKiS7_ ; -- Begin function _ZN9rocsparseL28bsrpad_value_kernel_unsortedILi1024E21rocsparse_complex_numIdEEEviiiT0_21rocsparse_index_base_PS3_PKiS7_
	.p2align	8
	.type	_ZN9rocsparseL28bsrpad_value_kernel_unsortedILi1024E21rocsparse_complex_numIdEEEviiiT0_21rocsparse_index_base_PS3_PKiS7_,@function
_ZN9rocsparseL28bsrpad_value_kernel_unsortedILi1024E21rocsparse_complex_numIdEEEviiiT0_21rocsparse_index_base_PS3_PKiS7_: ; @_ZN9rocsparseL28bsrpad_value_kernel_unsortedILi1024E21rocsparse_complex_numIdEEEviiiT0_21rocsparse_index_base_PS3_PKiS7_
; %bb.0:
	s_load_b64 s[2:3], s[0:1], 0x30
	s_mov_b32 s4, exec_lo
	v_cmpx_eq_u32_e32 0, v0
; %bb.1:
	v_dual_mov_b32 v1, -1 :: v_dual_mov_b32 v2, 0
	ds_store_b32 v2, v1
; %bb.2:
	s_or_b32 exec_lo, exec_lo, s4
	s_clause 0x1
	s_load_b96 s[4:6], s[0:1], 0x0
	s_load_b32 s7, s[0:1], 0x20
	s_mov_b32 s10, exec_lo
	s_wait_kmcnt 0x0
	s_ashr_i32 s9, s5, 31
	s_mov_b32 s8, s5
	v_subrev_nc_u32_e32 v1, s7, v0
	s_lshl_b64 s[8:9], s[8:9], 2
	s_delay_alu instid0(SALU_CYCLE_1) | instskip(NEXT) | instid1(SALU_CYCLE_1)
	s_add_nc_u64 s[2:3], s[2:3], s[8:9]
	s_add_nc_u64 s[8:9], s[2:3], -4
	s_load_b64 s[2:3], s[8:9], 0x0
	s_wait_dscnt 0x0
	s_barrier_signal -1
	s_barrier_wait -1
	s_wait_kmcnt 0x0
	v_add_nc_u32_e32 v2, s2, v1
	s_sub_co_i32 s3, s3, s7
	s_delay_alu instid0(VALU_DEP_1) | instid1(SALU_CYCLE_1)
	v_cmpx_gt_i32_e64 s3, v2
	s_cbranch_execz .LBB7_14
; %bb.3:
	v_add_nc_u32_e32 v1, s2, v0
	s_load_b64 s[8:9], s[0:1], 0x38
	v_not_b32_e32 v3, v0
	s_add_co_i32 s5, s5, -1
	s_mov_b32 s11, exec_lo
	v_subrev_nc_u32_e32 v1, s7, v1
	s_delay_alu instid0(VALU_DEP_1) | instskip(NEXT) | instid1(VALU_DEP_1)
	v_add_max_i32_e64 v1, 0x400, v1, s3
	v_add3_u32 v1, s7, v1, v3
	s_delay_alu instid0(VALU_DEP_1) | instskip(SKIP_1) | instid1(VALU_DEP_1)
	v_subrev_nc_u32_e32 v1, s2, v1
	s_mov_b32 s2, -1
	v_cmpx_lt_u32_e32 0x3ff, v1
	s_cbranch_execz .LBB7_9
; %bb.4:
	v_dual_lshrrev_b32 v1, 10, v1 :: v_dual_mov_b32 v7, 0
	v_add_nc_u32_e32 v3, 0x400, v2
	s_mov_b32 s12, s7
	s_mov_b32 s14, s5
	s_delay_alu instid0(VALU_DEP_2) | instskip(NEXT) | instid1(VALU_DEP_2)
	v_dual_mov_b32 v8, v2 :: v_dual_add_nc_u32 v1, 1, v1
	v_mov_b64_e32 v[4:5], v[2:3]
	s_mov_b32 s13, 0
	s_delay_alu instid0(VALU_DEP_2) | instskip(NEXT) | instid1(VALU_DEP_1)
	v_and_b32_e32 v6, 0x7ffffe, v1
	v_mov_b32_e32 v9, v6
	s_branch .LBB7_6
.LBB7_5:                                ;   in Loop: Header=BB7_6 Depth=1
	s_or_b32 exec_lo, exec_lo, s2
	v_add_nc_u32_e32 v9, -2, v9
	v_add_nc_u32_e32 v5, 0x800, v5
	v_add_nc_u32_e32 v4, 0x800, v4
	;; [unrolled: 1-line block ×3, first 2 shown]
	s_delay_alu instid0(VALU_DEP_4) | instskip(SKIP_1) | instid1(SALU_CYCLE_1)
	v_cmp_eq_u32_e32 vcc_lo, 0, v9
	s_or_b32 s13, vcc_lo, s13
	s_and_not1_b32 exec_lo, exec_lo, s13
	s_cbranch_execz .LBB7_8
.LBB7_6:                                ; =>This Inner Loop Header: Depth=1
	s_wait_kmcnt 0x0
	s_clause 0x1
	global_load_b32 v3, v5, s[8:9] scale_offset
	global_load_b32 v10, v4, s[8:9] scale_offset
	s_wait_loadcnt 0x1
	v_subrev_nc_u32_e32 v3, s12, v3
	s_wait_loadcnt 0x0
	v_subrev_nc_u32_e32 v10, s7, v10
	s_delay_alu instid0(VALU_DEP_2) | instskip(NEXT) | instid1(VALU_DEP_2)
	v_cmp_eq_u32_e32 vcc_lo, s14, v3
	v_cmp_eq_u32_e64 s2, s5, v10
	s_or_b32 s15, s2, vcc_lo
	s_wait_xcnt 0x0
	s_and_saveexec_b32 s2, s15
	s_cbranch_execz .LBB7_5
; %bb.7:                                ;   in Loop: Header=BB7_6 Depth=1
	v_add_nc_u32_e32 v3, 0x400, v8
	s_delay_alu instid0(VALU_DEP_1)
	v_cndmask_b32_e32 v3, v8, v3, vcc_lo
	ds_store_b32 v7, v3
	s_branch .LBB7_5
.LBB7_8:
	s_or_b32 exec_lo, exec_lo, s13
	v_cmp_ne_u32_e32 vcc_lo, v1, v6
	v_lshl_add_u32 v2, v6, 10, v2
	s_or_not1_b32 s2, vcc_lo, exec_lo
.LBB7_9:
	s_or_b32 exec_lo, exec_lo, s11
	s_delay_alu instid0(SALU_CYCLE_1)
	s_and_b32 exec_lo, exec_lo, s2
	s_cbranch_execz .LBB7_14
; %bb.10:
	v_dual_ashrrev_i32 v3, 31, v2 :: v_dual_mov_b32 v1, 0
	s_mov_b32 s2, 0
	s_wait_kmcnt 0x0
	s_delay_alu instid0(VALU_DEP_1)
	v_lshl_add_u64 v[4:5], v[2:3], 2, s[8:9]
	s_branch .LBB7_12
.LBB7_11:                               ;   in Loop: Header=BB7_12 Depth=1
	s_or_b32 exec_lo, exec_lo, s8
	v_add_nc_u32_e32 v2, 0x400, v2
	v_add_nc_u64_e32 v[4:5], 0x1000, v[4:5]
	s_delay_alu instid0(VALU_DEP_2) | instskip(SKIP_1) | instid1(SALU_CYCLE_1)
	v_cmp_le_i32_e32 vcc_lo, s3, v2
	s_or_b32 s2, vcc_lo, s2
	s_and_not1_b32 exec_lo, exec_lo, s2
	s_cbranch_execz .LBB7_14
.LBB7_12:                               ; =>This Inner Loop Header: Depth=1
	global_load_b32 v3, v[4:5], off
	s_mov_b32 s8, exec_lo
	s_wait_loadcnt 0x0
	v_subrev_nc_u32_e32 v3, s7, v3
	s_delay_alu instid0(VALU_DEP_1)
	v_cmpx_eq_u32_e64 s5, v3
	s_cbranch_execz .LBB7_11
; %bb.13:                               ;   in Loop: Header=BB7_12 Depth=1
	ds_store_b32 v1, v2
	s_branch .LBB7_11
.LBB7_14:
	s_or_b32 exec_lo, exec_lo, s10
	v_mov_b32_e32 v1, 0
	s_wait_dscnt 0x0
	s_barrier_signal -1
	s_barrier_wait -1
	ds_load_b32 v1, v1
	s_bfe_u32 s2, ttmp6, 0x4000c
	s_and_b32 s3, ttmp6, 15
	s_add_co_i32 s2, s2, 1
	s_getreg_b32 s5, hwreg(HW_REG_IB_STS2, 6, 4)
	s_mul_i32 s2, ttmp9, s2
	s_delay_alu instid0(SALU_CYCLE_1) | instskip(SKIP_2) | instid1(SALU_CYCLE_1)
	s_add_co_i32 s3, s3, s2
	s_cmp_eq_u32 s5, 0
	s_cselect_b32 s2, ttmp9, s3
	v_lshl_or_b32 v0, s2, 10, v0
	s_delay_alu instid0(VALU_DEP_1) | instskip(SKIP_4) | instid1(SALU_CYCLE_1)
	v_cmp_gt_i32_e32 vcc_lo, s6, v0
	s_wait_dscnt 0x0
	v_readfirstlane_b32 s2, v1
	s_cmp_gt_i32 s2, -1
	s_cselect_b32 s2, -1, 0
	s_and_b32 s2, s2, vcc_lo
	s_delay_alu instid0(SALU_CYCLE_1)
	s_and_saveexec_b32 s3, s2
	s_cbranch_execz .LBB7_17
; %bb.15:
	s_abs_i32 s2, s6
	s_abs_i32 s7, s4
	s_cvt_f32_u32 s3, s2
	s_sub_co_i32 s5, 0, s2
	s_ashr_i32 s4, s4, 31
	s_delay_alu instid0(SALU_CYCLE_1) | instskip(SKIP_1) | instid1(TRANS32_DEP_1)
	v_rcp_iflag_f32_e32 v2, s3
	v_nop
	v_readfirstlane_b32 s3, v2
	s_mul_f32 s3, s3, 0x4f7ffffe
	s_delay_alu instid0(SALU_CYCLE_3) | instskip(NEXT) | instid1(SALU_CYCLE_3)
	s_cvt_u32_f32 s3, s3
	s_mul_i32 s5, s5, s3
	s_delay_alu instid0(SALU_CYCLE_1) | instskip(NEXT) | instid1(SALU_CYCLE_1)
	s_mul_hi_u32 s5, s3, s5
	s_add_co_i32 s3, s3, s5
	s_delay_alu instid0(SALU_CYCLE_1) | instskip(NEXT) | instid1(SALU_CYCLE_1)
	s_mul_hi_u32 s3, s7, s3
	s_mul_i32 s3, s3, s2
	s_delay_alu instid0(SALU_CYCLE_1) | instskip(NEXT) | instid1(SALU_CYCLE_1)
	s_sub_co_i32 s3, s7, s3
	s_sub_co_i32 s5, s3, s2
	s_cmp_ge_u32 s3, s2
	s_cselect_b32 s3, s5, s3
	s_delay_alu instid0(SALU_CYCLE_1) | instskip(SKIP_2) | instid1(SALU_CYCLE_1)
	s_sub_co_i32 s5, s3, s2
	s_cmp_ge_u32 s3, s2
	s_cselect_b32 s2, s5, s3
	s_xor_b32 s2, s2, s4
	s_delay_alu instid0(SALU_CYCLE_1) | instskip(NEXT) | instid1(SALU_CYCLE_1)
	s_sub_co_i32 s2, s2, s4
	v_cmp_le_i32_e32 vcc_lo, s2, v0
	s_cmp_gt_i32 s2, 0
	s_cselect_b32 s2, -1, 0
	s_delay_alu instid0(SALU_CYCLE_1) | instskip(NEXT) | instid1(SALU_CYCLE_1)
	s_and_b32 s2, s2, vcc_lo
	s_and_b32 exec_lo, exec_lo, s2
	s_cbranch_execz .LBB7_17
; %bb.16:
	s_wait_kmcnt 0x0
	s_load_b128 s[8:11], s[0:1], 0x10
	v_mad_u32 v1, v1, s6, v0
	s_wait_xcnt 0x0
	s_load_b64 s[0:1], s[0:1], 0x28
	s_delay_alu instid0(VALU_DEP_1)
	v_mad_u32 v4, v1, s6, v0
	s_wait_kmcnt 0x0
	v_mov_b64_e32 v[0:1], s[8:9]
	v_mov_b64_e32 v[2:3], s[10:11]
	global_store_b128 v4, v[0:3], s[0:1] scale_offset
.LBB7_17:
	s_endpgm
	.section	.rodata,"a",@progbits
	.p2align	6, 0x0
	.amdhsa_kernel _ZN9rocsparseL28bsrpad_value_kernel_unsortedILi1024E21rocsparse_complex_numIdEEEviiiT0_21rocsparse_index_base_PS3_PKiS7_
		.amdhsa_group_segment_fixed_size 4
		.amdhsa_private_segment_fixed_size 0
		.amdhsa_kernarg_size 64
		.amdhsa_user_sgpr_count 2
		.amdhsa_user_sgpr_dispatch_ptr 0
		.amdhsa_user_sgpr_queue_ptr 0
		.amdhsa_user_sgpr_kernarg_segment_ptr 1
		.amdhsa_user_sgpr_dispatch_id 0
		.amdhsa_user_sgpr_kernarg_preload_length 0
		.amdhsa_user_sgpr_kernarg_preload_offset 0
		.amdhsa_user_sgpr_private_segment_size 0
		.amdhsa_wavefront_size32 1
		.amdhsa_uses_dynamic_stack 0
		.amdhsa_enable_private_segment 0
		.amdhsa_system_sgpr_workgroup_id_x 1
		.amdhsa_system_sgpr_workgroup_id_y 0
		.amdhsa_system_sgpr_workgroup_id_z 0
		.amdhsa_system_sgpr_workgroup_info 0
		.amdhsa_system_vgpr_workitem_id 0
		.amdhsa_next_free_vgpr 11
		.amdhsa_next_free_sgpr 16
		.amdhsa_named_barrier_count 0
		.amdhsa_reserve_vcc 1
		.amdhsa_float_round_mode_32 0
		.amdhsa_float_round_mode_16_64 0
		.amdhsa_float_denorm_mode_32 3
		.amdhsa_float_denorm_mode_16_64 3
		.amdhsa_fp16_overflow 0
		.amdhsa_memory_ordered 1
		.amdhsa_forward_progress 1
		.amdhsa_inst_pref_size 8
		.amdhsa_round_robin_scheduling 0
		.amdhsa_exception_fp_ieee_invalid_op 0
		.amdhsa_exception_fp_denorm_src 0
		.amdhsa_exception_fp_ieee_div_zero 0
		.amdhsa_exception_fp_ieee_overflow 0
		.amdhsa_exception_fp_ieee_underflow 0
		.amdhsa_exception_fp_ieee_inexact 0
		.amdhsa_exception_int_div_zero 0
	.end_amdhsa_kernel
	.section	.text._ZN9rocsparseL28bsrpad_value_kernel_unsortedILi1024E21rocsparse_complex_numIdEEEviiiT0_21rocsparse_index_base_PS3_PKiS7_,"axG",@progbits,_ZN9rocsparseL28bsrpad_value_kernel_unsortedILi1024E21rocsparse_complex_numIdEEEviiiT0_21rocsparse_index_base_PS3_PKiS7_,comdat
.Lfunc_end7:
	.size	_ZN9rocsparseL28bsrpad_value_kernel_unsortedILi1024E21rocsparse_complex_numIdEEEviiiT0_21rocsparse_index_base_PS3_PKiS7_, .Lfunc_end7-_ZN9rocsparseL28bsrpad_value_kernel_unsortedILi1024E21rocsparse_complex_numIdEEEviiiT0_21rocsparse_index_base_PS3_PKiS7_
                                        ; -- End function
	.set _ZN9rocsparseL28bsrpad_value_kernel_unsortedILi1024E21rocsparse_complex_numIdEEEviiiT0_21rocsparse_index_base_PS3_PKiS7_.num_vgpr, 11
	.set _ZN9rocsparseL28bsrpad_value_kernel_unsortedILi1024E21rocsparse_complex_numIdEEEviiiT0_21rocsparse_index_base_PS3_PKiS7_.num_agpr, 0
	.set _ZN9rocsparseL28bsrpad_value_kernel_unsortedILi1024E21rocsparse_complex_numIdEEEviiiT0_21rocsparse_index_base_PS3_PKiS7_.numbered_sgpr, 16
	.set _ZN9rocsparseL28bsrpad_value_kernel_unsortedILi1024E21rocsparse_complex_numIdEEEviiiT0_21rocsparse_index_base_PS3_PKiS7_.num_named_barrier, 0
	.set _ZN9rocsparseL28bsrpad_value_kernel_unsortedILi1024E21rocsparse_complex_numIdEEEviiiT0_21rocsparse_index_base_PS3_PKiS7_.private_seg_size, 0
	.set _ZN9rocsparseL28bsrpad_value_kernel_unsortedILi1024E21rocsparse_complex_numIdEEEviiiT0_21rocsparse_index_base_PS3_PKiS7_.uses_vcc, 1
	.set _ZN9rocsparseL28bsrpad_value_kernel_unsortedILi1024E21rocsparse_complex_numIdEEEviiiT0_21rocsparse_index_base_PS3_PKiS7_.uses_flat_scratch, 0
	.set _ZN9rocsparseL28bsrpad_value_kernel_unsortedILi1024E21rocsparse_complex_numIdEEEviiiT0_21rocsparse_index_base_PS3_PKiS7_.has_dyn_sized_stack, 0
	.set _ZN9rocsparseL28bsrpad_value_kernel_unsortedILi1024E21rocsparse_complex_numIdEEEviiiT0_21rocsparse_index_base_PS3_PKiS7_.has_recursion, 0
	.set _ZN9rocsparseL28bsrpad_value_kernel_unsortedILi1024E21rocsparse_complex_numIdEEEviiiT0_21rocsparse_index_base_PS3_PKiS7_.has_indirect_call, 0
	.section	.AMDGPU.csdata,"",@progbits
; Kernel info:
; codeLenInByte = 952
; TotalNumSgprs: 18
; NumVgprs: 11
; ScratchSize: 0
; MemoryBound: 0
; FloatMode: 240
; IeeeMode: 1
; LDSByteSize: 4 bytes/workgroup (compile time only)
; SGPRBlocks: 0
; VGPRBlocks: 0
; NumSGPRsForWavesPerEU: 18
; NumVGPRsForWavesPerEU: 11
; NamedBarCnt: 0
; Occupancy: 16
; WaveLimiterHint : 0
; COMPUTE_PGM_RSRC2:SCRATCH_EN: 0
; COMPUTE_PGM_RSRC2:USER_SGPR: 2
; COMPUTE_PGM_RSRC2:TRAP_HANDLER: 0
; COMPUTE_PGM_RSRC2:TGID_X_EN: 1
; COMPUTE_PGM_RSRC2:TGID_Y_EN: 0
; COMPUTE_PGM_RSRC2:TGID_Z_EN: 0
; COMPUTE_PGM_RSRC2:TIDIG_COMP_CNT: 0
	.section	.AMDGPU.gpr_maximums,"",@progbits
	.set amdgpu.max_num_vgpr, 0
	.set amdgpu.max_num_agpr, 0
	.set amdgpu.max_num_sgpr, 0
	.section	.AMDGPU.csdata,"",@progbits
	.type	__hip_cuid_e4492686749a5f7e,@object ; @__hip_cuid_e4492686749a5f7e
	.section	.bss,"aw",@nobits
	.globl	__hip_cuid_e4492686749a5f7e
__hip_cuid_e4492686749a5f7e:
	.byte	0                               ; 0x0
	.size	__hip_cuid_e4492686749a5f7e, 1

	.ident	"AMD clang version 22.0.0git (https://github.com/RadeonOpenCompute/llvm-project roc-7.2.4 26084 f58b06dce1f9c15707c5f808fd002e18c2accf7e)"
	.section	".note.GNU-stack","",@progbits
	.addrsig
	.addrsig_sym __hip_cuid_e4492686749a5f7e
	.amdgpu_metadata
---
amdhsa.kernels:
  - .args:
      - .offset:         0
        .size:           4
        .value_kind:     by_value
      - .offset:         4
        .size:           4
        .value_kind:     by_value
      - .offset:         8
        .size:           4
        .value_kind:     by_value
      - .offset:         12
        .size:           4
        .value_kind:     by_value
      - .offset:         16
        .size:           4
        .value_kind:     by_value
      - .actual_access:  write_only
        .address_space:  global
        .offset:         24
        .size:           8
        .value_kind:     global_buffer
      - .actual_access:  read_only
        .address_space:  global
        .offset:         32
        .size:           8
        .value_kind:     global_buffer
      - .actual_access:  read_only
        .address_space:  global
        .offset:         40
        .size:           8
        .value_kind:     global_buffer
    .group_segment_fixed_size: 0
    .kernarg_segment_align: 8
    .kernarg_segment_size: 48
    .language:       OpenCL C
    .language_version:
      - 2
      - 0
    .max_flat_workgroup_size: 1024
    .name:           _ZN9rocsparseL26bsrpad_value_kernel_sortedILi1024EfEEviiiT0_21rocsparse_index_base_PS1_PKiS5_
    .private_segment_fixed_size: 0
    .sgpr_count:     16
    .sgpr_spill_count: 0
    .symbol:         _ZN9rocsparseL26bsrpad_value_kernel_sortedILi1024EfEEviiiT0_21rocsparse_index_base_PS1_PKiS5_.kd
    .uniform_work_group_size: 1
    .uses_dynamic_stack: false
    .vgpr_count:     2
    .vgpr_spill_count: 0
    .wavefront_size: 32
  - .args:
      - .offset:         0
        .size:           4
        .value_kind:     by_value
      - .offset:         4
        .size:           4
        .value_kind:     by_value
      - .offset:         8
        .size:           4
        .value_kind:     by_value
      - .offset:         12
        .size:           4
        .value_kind:     by_value
      - .offset:         16
        .size:           4
        .value_kind:     by_value
      - .actual_access:  write_only
        .address_space:  global
        .offset:         24
        .size:           8
        .value_kind:     global_buffer
      - .actual_access:  read_only
        .address_space:  global
        .offset:         32
        .size:           8
        .value_kind:     global_buffer
      - .actual_access:  read_only
        .address_space:  global
        .offset:         40
        .size:           8
        .value_kind:     global_buffer
    .group_segment_fixed_size: 4
    .kernarg_segment_align: 8
    .kernarg_segment_size: 48
    .language:       OpenCL C
    .language_version:
      - 2
      - 0
    .max_flat_workgroup_size: 1024
    .name:           _ZN9rocsparseL28bsrpad_value_kernel_unsortedILi1024EfEEviiiT0_21rocsparse_index_base_PS1_PKiS5_
    .private_segment_fixed_size: 0
    .sgpr_count:     19
    .sgpr_spill_count: 0
    .symbol:         _ZN9rocsparseL28bsrpad_value_kernel_unsortedILi1024EfEEviiiT0_21rocsparse_index_base_PS1_PKiS5_.kd
    .uniform_work_group_size: 1
    .uses_dynamic_stack: false
    .vgpr_count:     11
    .vgpr_spill_count: 0
    .wavefront_size: 32
  - .args:
      - .offset:         0
        .size:           4
        .value_kind:     by_value
      - .offset:         4
        .size:           4
        .value_kind:     by_value
      - .offset:         8
        .size:           4
        .value_kind:     by_value
      - .offset:         16
        .size:           8
        .value_kind:     by_value
      - .offset:         24
        .size:           4
        .value_kind:     by_value
      - .actual_access:  write_only
        .address_space:  global
        .offset:         32
        .size:           8
        .value_kind:     global_buffer
      - .actual_access:  read_only
        .address_space:  global
        .offset:         40
        .size:           8
        .value_kind:     global_buffer
      - .actual_access:  read_only
        .address_space:  global
        .offset:         48
        .size:           8
        .value_kind:     global_buffer
    .group_segment_fixed_size: 0
    .kernarg_segment_align: 8
    .kernarg_segment_size: 56
    .language:       OpenCL C
    .language_version:
      - 2
      - 0
    .max_flat_workgroup_size: 1024
    .name:           _ZN9rocsparseL26bsrpad_value_kernel_sortedILi1024EdEEviiiT0_21rocsparse_index_base_PS1_PKiS5_
    .private_segment_fixed_size: 0
    .sgpr_count:     14
    .sgpr_spill_count: 0
    .symbol:         _ZN9rocsparseL26bsrpad_value_kernel_sortedILi1024EdEEviiiT0_21rocsparse_index_base_PS1_PKiS5_.kd
    .uniform_work_group_size: 1
    .uses_dynamic_stack: false
    .vgpr_count:     3
    .vgpr_spill_count: 0
    .wavefront_size: 32
  - .args:
      - .offset:         0
        .size:           4
        .value_kind:     by_value
      - .offset:         4
        .size:           4
        .value_kind:     by_value
      - .offset:         8
        .size:           4
        .value_kind:     by_value
      - .offset:         16
        .size:           8
        .value_kind:     by_value
      - .offset:         24
        .size:           4
        .value_kind:     by_value
      - .actual_access:  write_only
        .address_space:  global
        .offset:         32
        .size:           8
        .value_kind:     global_buffer
      - .actual_access:  read_only
        .address_space:  global
        .offset:         40
        .size:           8
        .value_kind:     global_buffer
      - .actual_access:  read_only
        .address_space:  global
        .offset:         48
        .size:           8
        .value_kind:     global_buffer
    .group_segment_fixed_size: 4
    .kernarg_segment_align: 8
    .kernarg_segment_size: 56
    .language:       OpenCL C
    .language_version:
      - 2
      - 0
    .max_flat_workgroup_size: 1024
    .name:           _ZN9rocsparseL28bsrpad_value_kernel_unsortedILi1024EdEEviiiT0_21rocsparse_index_base_PS1_PKiS5_
    .private_segment_fixed_size: 0
    .sgpr_count:     18
    .sgpr_spill_count: 0
    .symbol:         _ZN9rocsparseL28bsrpad_value_kernel_unsortedILi1024EdEEviiiT0_21rocsparse_index_base_PS1_PKiS5_.kd
    .uniform_work_group_size: 1
    .uses_dynamic_stack: false
    .vgpr_count:     11
    .vgpr_spill_count: 0
    .wavefront_size: 32
  - .args:
      - .offset:         0
        .size:           4
        .value_kind:     by_value
      - .offset:         4
        .size:           4
        .value_kind:     by_value
      - .offset:         8
        .size:           4
        .value_kind:     by_value
      - .offset:         12
        .size:           8
        .value_kind:     by_value
      - .offset:         20
        .size:           4
        .value_kind:     by_value
      - .actual_access:  write_only
        .address_space:  global
        .offset:         24
        .size:           8
        .value_kind:     global_buffer
      - .actual_access:  read_only
        .address_space:  global
        .offset:         32
        .size:           8
        .value_kind:     global_buffer
      - .actual_access:  read_only
        .address_space:  global
        .offset:         40
        .size:           8
        .value_kind:     global_buffer
    .group_segment_fixed_size: 0
    .kernarg_segment_align: 8
    .kernarg_segment_size: 48
    .language:       OpenCL C
    .language_version:
      - 2
      - 0
    .max_flat_workgroup_size: 1024
    .name:           _ZN9rocsparseL26bsrpad_value_kernel_sortedILi1024E21rocsparse_complex_numIfEEEviiiT0_21rocsparse_index_base_PS3_PKiS7_
    .private_segment_fixed_size: 0
    .sgpr_count:     14
    .sgpr_spill_count: 0
    .symbol:         _ZN9rocsparseL26bsrpad_value_kernel_sortedILi1024E21rocsparse_complex_numIfEEEviiiT0_21rocsparse_index_base_PS3_PKiS7_.kd
    .uniform_work_group_size: 1
    .uses_dynamic_stack: false
    .vgpr_count:     3
    .vgpr_spill_count: 0
    .wavefront_size: 32
  - .args:
      - .offset:         0
        .size:           4
        .value_kind:     by_value
      - .offset:         4
        .size:           4
        .value_kind:     by_value
      - .offset:         8
        .size:           4
        .value_kind:     by_value
      - .offset:         12
        .size:           8
        .value_kind:     by_value
      - .offset:         20
        .size:           4
        .value_kind:     by_value
      - .actual_access:  write_only
        .address_space:  global
        .offset:         24
        .size:           8
        .value_kind:     global_buffer
      - .actual_access:  read_only
        .address_space:  global
        .offset:         32
        .size:           8
        .value_kind:     global_buffer
      - .actual_access:  read_only
        .address_space:  global
        .offset:         40
        .size:           8
        .value_kind:     global_buffer
    .group_segment_fixed_size: 4
    .kernarg_segment_align: 8
    .kernarg_segment_size: 48
    .language:       OpenCL C
    .language_version:
      - 2
      - 0
    .max_flat_workgroup_size: 1024
    .name:           _ZN9rocsparseL28bsrpad_value_kernel_unsortedILi1024E21rocsparse_complex_numIfEEEviiiT0_21rocsparse_index_base_PS3_PKiS7_
    .private_segment_fixed_size: 0
    .sgpr_count:     18
    .sgpr_spill_count: 0
    .symbol:         _ZN9rocsparseL28bsrpad_value_kernel_unsortedILi1024E21rocsparse_complex_numIfEEEviiiT0_21rocsparse_index_base_PS3_PKiS7_.kd
    .uniform_work_group_size: 1
    .uses_dynamic_stack: false
    .vgpr_count:     11
    .vgpr_spill_count: 0
    .wavefront_size: 32
  - .args:
      - .offset:         0
        .size:           4
        .value_kind:     by_value
      - .offset:         4
        .size:           4
        .value_kind:     by_value
      - .offset:         8
        .size:           4
        .value_kind:     by_value
      - .offset:         16
        .size:           16
        .value_kind:     by_value
      - .offset:         32
        .size:           4
        .value_kind:     by_value
      - .actual_access:  write_only
        .address_space:  global
        .offset:         40
        .size:           8
        .value_kind:     global_buffer
      - .actual_access:  read_only
        .address_space:  global
        .offset:         48
        .size:           8
        .value_kind:     global_buffer
      - .actual_access:  read_only
        .address_space:  global
        .offset:         56
        .size:           8
        .value_kind:     global_buffer
    .group_segment_fixed_size: 0
    .kernarg_segment_align: 8
    .kernarg_segment_size: 64
    .language:       OpenCL C
    .language_version:
      - 2
      - 0
    .max_flat_workgroup_size: 1024
    .name:           _ZN9rocsparseL26bsrpad_value_kernel_sortedILi1024E21rocsparse_complex_numIdEEEviiiT0_21rocsparse_index_base_PS3_PKiS7_
    .private_segment_fixed_size: 0
    .sgpr_count:     14
    .sgpr_spill_count: 0
    .symbol:         _ZN9rocsparseL26bsrpad_value_kernel_sortedILi1024E21rocsparse_complex_numIdEEEviiiT0_21rocsparse_index_base_PS3_PKiS7_.kd
    .uniform_work_group_size: 1
    .uses_dynamic_stack: false
    .vgpr_count:     5
    .vgpr_spill_count: 0
    .wavefront_size: 32
  - .args:
      - .offset:         0
        .size:           4
        .value_kind:     by_value
      - .offset:         4
        .size:           4
        .value_kind:     by_value
      - .offset:         8
        .size:           4
        .value_kind:     by_value
      - .offset:         16
        .size:           16
        .value_kind:     by_value
      - .offset:         32
        .size:           4
        .value_kind:     by_value
      - .actual_access:  write_only
        .address_space:  global
        .offset:         40
        .size:           8
        .value_kind:     global_buffer
      - .actual_access:  read_only
        .address_space:  global
        .offset:         48
        .size:           8
        .value_kind:     global_buffer
      - .actual_access:  read_only
        .address_space:  global
        .offset:         56
        .size:           8
        .value_kind:     global_buffer
    .group_segment_fixed_size: 4
    .kernarg_segment_align: 8
    .kernarg_segment_size: 64
    .language:       OpenCL C
    .language_version:
      - 2
      - 0
    .max_flat_workgroup_size: 1024
    .name:           _ZN9rocsparseL28bsrpad_value_kernel_unsortedILi1024E21rocsparse_complex_numIdEEEviiiT0_21rocsparse_index_base_PS3_PKiS7_
    .private_segment_fixed_size: 0
    .sgpr_count:     18
    .sgpr_spill_count: 0
    .symbol:         _ZN9rocsparseL28bsrpad_value_kernel_unsortedILi1024E21rocsparse_complex_numIdEEEviiiT0_21rocsparse_index_base_PS3_PKiS7_.kd
    .uniform_work_group_size: 1
    .uses_dynamic_stack: false
    .vgpr_count:     11
    .vgpr_spill_count: 0
    .wavefront_size: 32
amdhsa.target:   amdgcn-amd-amdhsa--gfx1250
amdhsa.version:
  - 1
  - 2
...

	.end_amdgpu_metadata
